;; amdgpu-corpus repo=ROCm/rocFFT kind=compiled arch=gfx1100 opt=O3
	.text
	.amdgcn_target "amdgcn-amd-amdhsa--gfx1100"
	.amdhsa_code_object_version 6
	.protected	bluestein_single_back_len578_dim1_dp_op_CI_CI ; -- Begin function bluestein_single_back_len578_dim1_dp_op_CI_CI
	.globl	bluestein_single_back_len578_dim1_dp_op_CI_CI
	.p2align	8
	.type	bluestein_single_back_len578_dim1_dp_op_CI_CI,@function
bluestein_single_back_len578_dim1_dp_op_CI_CI: ; @bluestein_single_back_len578_dim1_dp_op_CI_CI
; %bb.0:
	s_load_b128 s[16:19], s[0:1], 0x28
	v_mul_u32_u24_e32 v1, 0x788, v0
	s_mov_b32 s2, exec_lo
	s_delay_alu instid0(VALU_DEP_1) | instskip(NEXT) | instid1(VALU_DEP_1)
	v_lshrrev_b32_e32 v1, 16, v1
	v_mad_u64_u32 v[4:5], null, s15, 7, v[1:2]
	v_mov_b32_e32 v5, 0
                                        ; kill: def $vgpr2 killed $sgpr0 killed $exec
	s_waitcnt lgkmcnt(0)
	s_delay_alu instid0(VALU_DEP_1)
	v_cmpx_gt_u64_e64 s[16:17], v[4:5]
	s_cbranch_execz .LBB0_10
; %bb.1:
	v_mul_lo_u16 v1, v1, 34
	s_clause 0x2
	s_load_b128 s[8:11], s[0:1], 0x0
	s_load_b128 s[20:23], s[0:1], 0x18
	s_load_b64 s[12:13], s[0:1], 0x38
	v_mov_b32_e32 v2, v4
	s_mov_b32 s46, 0x5d8e7cdc
	s_mov_b32 s50, 0x2a9d6da3
	v_sub_nc_u16 v49, v0, v1
	v_mul_hi_u32 v0, 0x24924925, v4
	s_mov_b32 s56, 0x7c9e640b
	s_mov_b32 s48, 0xeb564b22
	;; [unrolled: 1-line block ×3, first 2 shown]
	v_and_b32_e32 v152, 0xffff, v49
	s_mov_b32 s26, 0x6c9a05f6
	s_mov_b32 s34, 0x4363dd80
	;; [unrolled: 1-line block ×3, first 2 shown]
	v_sub_nc_u32_e32 v1, v4, v0
	v_lshlrev_b32_e32 v12, 4, v152
	s_mov_b32 s47, 0xbfd71e95
	s_mov_b32 s51, 0xbfe58eea
	;; [unrolled: 1-line block ×3, first 2 shown]
	v_lshrrev_b32_e32 v1, 1, v1
	s_waitcnt lgkmcnt(0)
	s_load_b128 s[0:3], s[20:21], 0x0
	global_load_b128 v[13:16], v12, s[8:9]
	scratch_store_b64 off, v[2:3], off offset:20 ; 8-byte Folded Spill
	s_load_b128 s[4:7], s[22:23], 0x0
	v_add_nc_u32_e32 v0, v1, v0
	s_mov_b32 s49, 0xbfefdd0d
	s_mov_b32 s17, 0xbfeec746
	;; [unrolled: 1-line block ×4, first 2 shown]
	v_lshrrev_b32_e32 v0, 2, v0
	s_mov_b32 s45, 0xbfc7851a
	s_mov_b32 s36, 0x370991
	;; [unrolled: 1-line block ×4, first 2 shown]
	v_mul_lo_u32 v0, v0, 7
	s_mov_b32 s14, 0xc61f0d01
	s_mov_b32 s22, 0x6ed5f1bb
	;; [unrolled: 1-line block ×7, first 2 shown]
	v_sub_nc_u32_e32 v0, v4, v0
	s_mov_b32 s15, 0xbfd183b1
	s_mov_b32 s23, 0xbfe348c8
	;; [unrolled: 1-line block ×4, first 2 shown]
	v_mul_u32_u24_e32 v8, 0x242, v0
	s_waitcnt lgkmcnt(0)
	v_mad_u64_u32 v[0:1], null, s2, v4, 0
	s_mov_b32 s59, 0x3fe0d888
	s_mov_b32 s58, s34
	v_lshlrev_b32_e32 v48, 4, v8
	s_mov_b32 s55, 0x3feec746
	s_mov_b32 s54, s16
	;; [unrolled: 1-line block ×3, first 2 shown]
	s_delay_alu instid0(VALU_DEP_2)
	v_mad_u64_u32 v[2:3], null, s3, v4, v[1:2]
	v_add_nc_u32_e32 v255, v12, v48
	s_mov_b32 s24, s56
	s_mov_b32 s41, 0x3fd71e95
	;; [unrolled: 1-line block ×5, first 2 shown]
	s_delay_alu instid0(VALU_DEP_2) | instskip(SKIP_3) | instid1(VALU_DEP_2)
	v_mov_b32_e32 v1, v2
	v_mad_u64_u32 v[2:3], null, s0, v152, 0
	s_mov_b32 s39, 0x3fe58eea
	s_mov_b32 s38, s50
	v_lshlrev_b64 v[0:1], 4, v[0:1]
	s_mov_b32 s53, 0x3fe9895b
	s_mov_b32 s52, s26
                                        ; implicit-def: $vgpr200_vgpr201
	s_delay_alu instid0(VALU_DEP_2) | instskip(SKIP_1) | instid1(VALU_DEP_1)
	v_mad_u64_u32 v[4:5], null, s1, v152, v[3:4]
	s_mulk_i32 s1, 0x220
	v_mov_b32_e32 v3, v4
	v_add_co_u32 v4, vcc_lo, s18, v0
	v_add_co_ci_u32_e32 v5, vcc_lo, s19, v1, vcc_lo
	s_delay_alu instid0(VALU_DEP_3) | instskip(SKIP_2) | instid1(VALU_DEP_1)
	v_lshlrev_b64 v[0:1], 4, v[2:3]
	s_mov_b32 s19, 0x3fefdd0d
	s_mov_b32 s18, s48
	v_add_co_u32 v10, vcc_lo, v4, v0
	s_delay_alu instid0(VALU_DEP_2) | instskip(SKIP_1) | instid1(VALU_DEP_1)
	v_add_co_ci_u32_e32 v11, vcc_lo, v5, v1, vcc_lo
	v_add_co_u32 v0, s2, s8, v12
	v_add_co_ci_u32_e64 v1, null, s9, 0, s2
	global_load_b128 v[2:5], v[10:11], off
	s_mul_hi_u32 s2, s0, 0x220
	s_mulk_i32 s0, 0x220
	s_add_i32 s1, s2, s1
	v_add_co_u32 v10, vcc_lo, v10, s0
	v_add_co_ci_u32_e32 v11, vcc_lo, s1, v11, vcc_lo
	v_add_co_u32 v208, s2, 0x110, v152
	s_delay_alu instid0(VALU_DEP_1)
	v_add_co_ci_u32_e64 v209, null, 0, 0, s2
	s_mov_b32 s2, 0x3259b75e
	s_mov_b32 s3, 0x3fb79ee6
	s_waitcnt vmcnt(1)
	scratch_store_b128 off, v[13:16], off offset:28 ; 16-byte Folded Spill
	s_waitcnt vmcnt(0)
	v_mul_f64 v[6:7], v[4:5], v[15:16]
	s_delay_alu instid0(VALU_DEP_1) | instskip(SKIP_1) | instid1(VALU_DEP_1)
	v_fma_f64 v[6:7], v[2:3], v[13:14], v[6:7]
	v_mul_f64 v[2:3], v[2:3], v[15:16]
	v_fma_f64 v[8:9], v[4:5], v[13:14], -v[2:3]
	ds_store_b128 v255, v[6:9]
	global_load_b128 v[2:5], v[10:11], off
	global_load_b128 v[13:16], v12, s[8:9] offset:544
	v_add_co_u32 v10, vcc_lo, v10, s0
	v_add_co_ci_u32_e32 v11, vcc_lo, s1, v11, vcc_lo
	s_waitcnt vmcnt(0)
	v_mul_f64 v[6:7], v[4:5], v[15:16]
	scratch_store_b128 off, v[13:16], off offset:44 ; 16-byte Folded Spill
	v_fma_f64 v[6:7], v[2:3], v[13:14], v[6:7]
	v_mul_f64 v[2:3], v[2:3], v[15:16]
	s_delay_alu instid0(VALU_DEP_1)
	v_fma_f64 v[8:9], v[4:5], v[13:14], -v[2:3]
	ds_store_b128 v255, v[6:9] offset:544
	global_load_b128 v[2:5], v[10:11], off
	global_load_b128 v[13:16], v12, s[8:9] offset:1088
	v_add_co_u32 v10, vcc_lo, v10, s0
	v_add_co_ci_u32_e32 v11, vcc_lo, s1, v11, vcc_lo
	s_waitcnt vmcnt(0)
	v_mul_f64 v[6:7], v[4:5], v[15:16]
	scratch_store_b128 off, v[13:16], off offset:60 ; 16-byte Folded Spill
	v_fma_f64 v[6:7], v[2:3], v[13:14], v[6:7]
	v_mul_f64 v[2:3], v[2:3], v[15:16]
	s_delay_alu instid0(VALU_DEP_1)
	v_fma_f64 v[8:9], v[4:5], v[13:14], -v[2:3]
	ds_store_b128 v255, v[6:9] offset:1088
	;; [unrolled: 12-line block ×6, first 2 shown]
	global_load_b128 v[2:5], v[10:11], off
	global_load_b128 v[12:15], v12, s[8:9] offset:3808
	v_add_co_u32 v10, vcc_lo, v10, s0
	v_add_co_ci_u32_e32 v11, vcc_lo, s1, v11, vcc_lo
	s_waitcnt vmcnt(0)
	v_mul_f64 v[6:7], v[4:5], v[14:15]
	scratch_store_b128 off, v[12:15], off offset:140 ; 16-byte Folded Spill
	v_fma_f64 v[6:7], v[2:3], v[12:13], v[6:7]
	v_mul_f64 v[2:3], v[2:3], v[14:15]
	s_delay_alu instid0(VALU_DEP_1)
	v_fma_f64 v[8:9], v[4:5], v[12:13], -v[2:3]
	v_add_co_u32 v12, vcc_lo, 0x1000, v0
	v_add_co_ci_u32_e32 v13, vcc_lo, 0, v1, vcc_lo
	global_load_b128 v[2:5], v[10:11], off
	v_add_co_u32 v10, vcc_lo, v10, s0
	global_load_b128 v[14:17], v[12:13], off offset:256
	v_add_co_ci_u32_e32 v11, vcc_lo, s1, v11, vcc_lo
	ds_store_b128 v255, v[6:9] offset:3808
	s_waitcnt vmcnt(0)
	v_mul_f64 v[6:7], v[4:5], v[16:17]
	scratch_store_b128 off, v[14:17], off offset:156 ; 16-byte Folded Spill
	v_fma_f64 v[6:7], v[2:3], v[14:15], v[6:7]
	v_mul_f64 v[2:3], v[2:3], v[16:17]
	s_delay_alu instid0(VALU_DEP_1)
	v_fma_f64 v[8:9], v[4:5], v[14:15], -v[2:3]
	ds_store_b128 v255, v[6:9] offset:4352
	global_load_b128 v[2:5], v[10:11], off
	global_load_b128 v[14:17], v[12:13], off offset:800
	v_add_co_u32 v10, vcc_lo, v10, s0
	v_add_co_ci_u32_e32 v11, vcc_lo, s1, v11, vcc_lo
	s_waitcnt vmcnt(0)
	v_mul_f64 v[6:7], v[4:5], v[16:17]
	scratch_store_b128 off, v[14:17], off offset:172 ; 16-byte Folded Spill
	v_fma_f64 v[6:7], v[2:3], v[14:15], v[6:7]
	v_mul_f64 v[2:3], v[2:3], v[16:17]
	s_delay_alu instid0(VALU_DEP_1)
	v_fma_f64 v[8:9], v[4:5], v[14:15], -v[2:3]
	ds_store_b128 v255, v[6:9] offset:4896
	global_load_b128 v[2:5], v[10:11], off
	global_load_b128 v[14:17], v[12:13], off offset:1344
	v_add_co_u32 v10, vcc_lo, v10, s0
	v_add_co_ci_u32_e32 v11, vcc_lo, s1, v11, vcc_lo
	;; [unrolled: 12-line block ×6, first 2 shown]
	s_waitcnt vmcnt(0)
	v_mul_f64 v[6:7], v[4:5], v[16:17]
	scratch_store_b128 off, v[14:17], off offset:252 ; 16-byte Folded Spill
	v_fma_f64 v[6:7], v[2:3], v[14:15], v[6:7]
	v_mul_f64 v[2:3], v[2:3], v[16:17]
	s_delay_alu instid0(VALU_DEP_1)
	v_fma_f64 v[8:9], v[4:5], v[14:15], -v[2:3]
	ds_store_b128 v255, v[6:9] offset:7616
	global_load_b128 v[2:5], v[10:11], off
	global_load_b128 v[12:15], v[12:13], off offset:4064
	s_waitcnt vmcnt(0)
	v_mul_f64 v[6:7], v[4:5], v[14:15]
	s_delay_alu instid0(VALU_DEP_1) | instskip(SKIP_1) | instid1(VALU_DEP_1)
	v_fma_f64 v[6:7], v[2:3], v[12:13], v[6:7]
	v_mul_f64 v[2:3], v[2:3], v[14:15]
	v_fma_f64 v[8:9], v[4:5], v[12:13], -v[2:3]
	v_add_co_u32 v2, vcc_lo, v10, s0
	v_add_co_ci_u32_e32 v3, vcc_lo, s1, v11, vcc_lo
	v_add_co_u32 v0, vcc_lo, 0x2000, v0
	v_add_co_ci_u32_e32 v1, vcc_lo, 0, v1, vcc_lo
	global_load_b128 v[2:5], v[2:3], off
	v_add_co_u32 v210, s0, 0xffffffef, v152
	s_delay_alu instid0(VALU_DEP_1) | instskip(SKIP_1) | instid1(VALU_DEP_2)
	v_add_co_ci_u32_e64 v211, null, 0, -1, s0
	v_cmp_gt_u16_e32 vcc_lo, 17, v49
	v_cndmask_b32_e64 v193, v211, 0, vcc_lo
	s_delay_alu instid0(VALU_DEP_4)
	v_cndmask_b32_e32 v192, v210, v152, vcc_lo
	ds_store_b128 v255, v[6:9] offset:8160
	global_load_b128 v[6:9], v[0:1], off offset:512
	scratch_store_b128 off, v[12:15], off offset:268 ; 16-byte Folded Spill
	s_waitcnt vmcnt(0)
	scratch_store_b128 off, v[6:9], off offset:284 ; 16-byte Folded Spill
	v_mul_f64 v[0:1], v[4:5], v[8:9]
	s_delay_alu instid0(VALU_DEP_1) | instskip(SKIP_1) | instid1(VALU_DEP_1)
	v_fma_f64 v[0:1], v[2:3], v[6:7], v[0:1]
	v_mul_f64 v[2:3], v[2:3], v[8:9]
	v_fma_f64 v[2:3], v[4:5], v[6:7], -v[2:3]
	ds_store_b128 v255, v[0:3] offset:8704
	s_waitcnt lgkmcnt(0)
	s_waitcnt_vscnt null, 0x0
	s_barrier
	buffer_gl0_inv
	ds_load_b128 v[0:3], v255
	ds_load_b128 v[4:7], v255 offset:544
	ds_load_b128 v[8:11], v255 offset:1088
	;; [unrolled: 1-line block ×16, first 2 shown]
	s_waitcnt lgkmcnt(0)
	s_barrier
	buffer_gl0_inv
	v_add_f64 v[38:39], v[2:3], v[6:7]
	v_add_f64 v[36:37], v[0:1], v[4:5]
	s_delay_alu instid0(VALU_DEP_2) | instskip(NEXT) | instid1(VALU_DEP_2)
	v_add_f64 v[38:39], v[38:39], v[10:11]
	v_add_f64 v[36:37], v[36:37], v[8:9]
	s_delay_alu instid0(VALU_DEP_2) | instskip(NEXT) | instid1(VALU_DEP_2)
	;; [unrolled: 3-line block ×14, first 2 shown]
	v_add_f64 v[38:39], v[38:39], v[30:31]
	v_add_f64 v[36:37], v[36:37], v[28:29]
	s_delay_alu instid0(VALU_DEP_2) | instskip(SKIP_2) | instid1(VALU_DEP_4)
	v_add_f64 v[70:71], v[38:39], v[34:35]
	v_add_f64 v[38:39], v[6:7], v[34:35]
	v_add_f64 v[6:7], v[6:7], -v[34:35]
	v_add_f64 v[68:69], v[36:37], v[32:33]
	v_add_f64 v[36:37], v[4:5], v[32:33]
	v_add_f64 v[4:5], v[4:5], -v[32:33]
	s_delay_alu instid0(VALU_DEP_4)
	v_mul_f64 v[32:33], v[6:7], s[46:47]
	v_mul_f64 v[44:45], v[6:7], s[50:51]
	;; [unrolled: 1-line block ×16, first 2 shown]
	v_fma_f64 v[34:35], v[36:37], s[36:37], -v[32:33]
	v_fma_f64 v[32:33], v[36:37], s[36:37], v[32:33]
	v_fma_f64 v[46:47], v[36:37], s[28:29], -v[44:45]
	v_fma_f64 v[44:45], v[36:37], s[28:29], v[44:45]
	;; [unrolled: 2-line block ×8, first 2 shown]
	v_fma_f64 v[42:43], v[38:39], s[36:37], v[40:41]
	v_fma_f64 v[40:41], v[38:39], s[36:37], -v[40:41]
	v_fma_f64 v[52:53], v[38:39], s[28:29], v[50:51]
	v_fma_f64 v[50:51], v[38:39], s[28:29], -v[50:51]
	;; [unrolled: 2-line block ×8, first 2 shown]
	v_add_f64 v[34:35], v[0:1], v[34:35]
	v_add_f64 v[32:33], v[0:1], v[32:33]
	;; [unrolled: 1-line block ×17, first 2 shown]
	v_add_f64 v[10:11], v[10:11], -v[30:31]
	v_add_f64 v[42:43], v[2:3], v[42:43]
	v_add_f64 v[40:41], v[2:3], v[40:41]
	;; [unrolled: 1-line block ×17, first 2 shown]
	v_add_f64 v[8:9], v[8:9], -v[28:29]
	v_mul_f64 v[28:29], v[10:11], s[50:51]
	s_delay_alu instid0(VALU_DEP_1) | instskip(SKIP_1) | instid1(VALU_DEP_2)
	v_fma_f64 v[30:31], v[4:5], s[28:29], -v[28:29]
	v_fma_f64 v[28:29], v[4:5], s[28:29], v[28:29]
	v_add_f64 v[30:31], v[30:31], v[34:35]
	v_mul_f64 v[34:35], v[8:9], s[50:51]
	s_delay_alu instid0(VALU_DEP_3) | instskip(NEXT) | instid1(VALU_DEP_2)
	v_add_f64 v[28:29], v[28:29], v[32:33]
	v_fma_f64 v[36:37], v[6:7], s[28:29], v[34:35]
	v_fma_f64 v[32:33], v[6:7], s[28:29], -v[34:35]
	v_mul_f64 v[34:35], v[10:11], s[48:49]
	s_delay_alu instid0(VALU_DEP_3) | instskip(NEXT) | instid1(VALU_DEP_3)
	v_add_f64 v[36:37], v[36:37], v[42:43]
	v_add_f64 v[32:33], v[32:33], v[40:41]
	s_delay_alu instid0(VALU_DEP_3) | instskip(SKIP_2) | instid1(VALU_DEP_3)
	v_fma_f64 v[38:39], v[4:5], s[2:3], -v[34:35]
	v_fma_f64 v[34:35], v[4:5], s[2:3], v[34:35]
	v_mul_f64 v[40:41], v[8:9], s[48:49]
	v_add_f64 v[38:39], v[38:39], v[46:47]
	s_delay_alu instid0(VALU_DEP_3) | instskip(SKIP_1) | instid1(VALU_DEP_4)
	v_add_f64 v[34:35], v[34:35], v[44:45]
	v_mul_f64 v[44:45], v[10:11], s[26:27]
	v_fma_f64 v[42:43], v[6:7], s[2:3], v[40:41]
	v_fma_f64 v[40:41], v[6:7], s[2:3], -v[40:41]
	s_delay_alu instid0(VALU_DEP_3) | instskip(SKIP_1) | instid1(VALU_DEP_3)
	v_fma_f64 v[46:47], v[4:5], s[22:23], -v[44:45]
	v_fma_f64 v[44:45], v[4:5], s[22:23], v[44:45]
	v_add_f64 v[40:41], v[40:41], v[50:51]
	v_mul_f64 v[50:51], v[8:9], s[26:27]
	v_add_f64 v[42:43], v[42:43], v[52:53]
	v_add_f64 v[46:47], v[46:47], v[56:57]
	v_add_f64 v[44:45], v[44:45], v[54:55]
	v_mul_f64 v[54:55], v[10:11], s[44:45]
	v_fma_f64 v[52:53], v[6:7], s[22:23], v[50:51]
	v_fma_f64 v[50:51], v[6:7], s[22:23], -v[50:51]
	s_delay_alu instid0(VALU_DEP_3) | instskip(SKIP_1) | instid1(VALU_DEP_3)
	v_fma_f64 v[56:57], v[4:5], s[42:43], -v[54:55]
	v_fma_f64 v[54:55], v[4:5], s[42:43], v[54:55]
	v_add_f64 v[50:51], v[50:51], v[58:59]
	v_mul_f64 v[58:59], v[8:9], s[44:45]
	v_add_f64 v[52:53], v[52:53], v[60:61]
	v_add_f64 v[56:57], v[56:57], v[64:65]
	;; [unrolled: 11-line block ×4, first 2 shown]
	v_add_f64 v[106:107], v[106:107], v[114:115]
	v_mul_f64 v[114:115], v[10:11], s[24:25]
	v_fma_f64 v[112:113], v[6:7], s[14:15], v[110:111]
	v_fma_f64 v[110:111], v[6:7], s[14:15], -v[110:111]
	v_mul_f64 v[10:11], v[10:11], s[40:41]
	s_delay_alu instid0(VALU_DEP_4) | instskip(SKIP_1) | instid1(VALU_DEP_4)
	v_fma_f64 v[116:117], v[4:5], s[20:21], -v[114:115]
	v_fma_f64 v[114:115], v[4:5], s[20:21], v[114:115]
	v_add_f64 v[110:111], v[110:111], v[118:119]
	v_mul_f64 v[118:119], v[8:9], s[24:25]
	v_mul_f64 v[8:9], v[8:9], s[40:41]
	v_add_f64 v[112:113], v[112:113], v[120:121]
	v_add_f64 v[116:117], v[116:117], v[124:125]
	;; [unrolled: 1-line block ×3, first 2 shown]
	v_fma_f64 v[122:123], v[4:5], s[36:37], -v[10:11]
	v_fma_f64 v[4:5], v[4:5], s[36:37], v[10:11]
	v_add_f64 v[10:11], v[14:15], -v[26:27]
	v_fma_f64 v[124:125], v[6:7], s[36:37], v[8:9]
	v_fma_f64 v[120:121], v[6:7], s[20:21], v[118:119]
	v_fma_f64 v[118:119], v[6:7], s[20:21], -v[118:119]
	v_add_f64 v[122:123], v[122:123], v[130:131]
	v_add_f64 v[0:1], v[4:5], v[0:1]
	v_fma_f64 v[4:5], v[6:7], s[36:37], -v[8:9]
	v_add_f64 v[8:9], v[12:13], -v[24:25]
	v_add_f64 v[6:7], v[14:15], v[26:27]
	v_add_f64 v[118:119], v[118:119], v[126:127]
	;; [unrolled: 1-line block ×6, first 2 shown]
	v_mul_f64 v[12:13], v[10:11], s[56:57]
	v_mul_f64 v[24:25], v[8:9], s[56:57]
	s_delay_alu instid0(VALU_DEP_2) | instskip(SKIP_1) | instid1(VALU_DEP_3)
	v_fma_f64 v[14:15], v[4:5], s[20:21], -v[12:13]
	v_fma_f64 v[12:13], v[4:5], s[20:21], v[12:13]
	v_fma_f64 v[26:27], v[6:7], s[20:21], v[24:25]
	v_fma_f64 v[24:25], v[6:7], s[20:21], -v[24:25]
	s_delay_alu instid0(VALU_DEP_4) | instskip(NEXT) | instid1(VALU_DEP_4)
	v_add_f64 v[14:15], v[14:15], v[30:31]
	v_add_f64 v[12:13], v[12:13], v[28:29]
	v_mul_f64 v[28:29], v[10:11], s[26:27]
	s_delay_alu instid0(VALU_DEP_4) | instskip(SKIP_2) | instid1(VALU_DEP_4)
	v_add_f64 v[24:25], v[24:25], v[32:33]
	v_mul_f64 v[32:33], v[8:9], s[26:27]
	v_add_f64 v[26:27], v[26:27], v[36:37]
	v_fma_f64 v[30:31], v[4:5], s[22:23], -v[28:29]
	v_fma_f64 v[28:29], v[4:5], s[22:23], v[28:29]
	s_delay_alu instid0(VALU_DEP_4) | instskip(SKIP_1) | instid1(VALU_DEP_4)
	v_fma_f64 v[36:37], v[6:7], s[22:23], v[32:33]
	v_fma_f64 v[32:33], v[6:7], s[22:23], -v[32:33]
	v_add_f64 v[30:31], v[30:31], v[38:39]
	s_delay_alu instid0(VALU_DEP_4) | instskip(SKIP_1) | instid1(VALU_DEP_4)
	v_add_f64 v[28:29], v[28:29], v[34:35]
	v_mul_f64 v[34:35], v[10:11], s[60:61]
	v_add_f64 v[32:33], v[32:33], v[40:41]
	v_mul_f64 v[40:41], v[8:9], s[60:61]
	v_add_f64 v[36:37], v[36:37], v[42:43]
	s_delay_alu instid0(VALU_DEP_4) | instskip(SKIP_1) | instid1(VALU_DEP_4)
	v_fma_f64 v[38:39], v[4:5], s[42:43], -v[34:35]
	v_fma_f64 v[34:35], v[4:5], s[42:43], v[34:35]
	v_fma_f64 v[42:43], v[6:7], s[42:43], v[40:41]
	v_fma_f64 v[40:41], v[6:7], s[42:43], -v[40:41]
	s_delay_alu instid0(VALU_DEP_4) | instskip(NEXT) | instid1(VALU_DEP_4)
	v_add_f64 v[38:39], v[38:39], v[46:47]
	v_add_f64 v[34:35], v[34:35], v[44:45]
	v_mul_f64 v[44:45], v[10:11], s[54:55]
	s_delay_alu instid0(VALU_DEP_4) | instskip(SKIP_2) | instid1(VALU_DEP_4)
	v_add_f64 v[40:41], v[40:41], v[50:51]
	v_mul_f64 v[50:51], v[8:9], s[54:55]
	v_add_f64 v[42:43], v[42:43], v[52:53]
	v_fma_f64 v[46:47], v[4:5], s[14:15], -v[44:45]
	v_fma_f64 v[44:45], v[4:5], s[14:15], v[44:45]
	s_delay_alu instid0(VALU_DEP_4) | instskip(SKIP_1) | instid1(VALU_DEP_4)
	v_fma_f64 v[52:53], v[6:7], s[14:15], v[50:51]
	v_fma_f64 v[50:51], v[6:7], s[14:15], -v[50:51]
	v_add_f64 v[46:47], v[46:47], v[56:57]
	s_delay_alu instid0(VALU_DEP_4) | instskip(SKIP_1) | instid1(VALU_DEP_4)
	v_add_f64 v[44:45], v[44:45], v[54:55]
	v_mul_f64 v[54:55], v[10:11], s[38:39]
	v_add_f64 v[50:51], v[50:51], v[58:59]
	v_mul_f64 v[58:59], v[8:9], s[38:39]
	v_add_f64 v[52:53], v[52:53], v[60:61]
	s_delay_alu instid0(VALU_DEP_4) | instskip(SKIP_1) | instid1(VALU_DEP_4)
	v_fma_f64 v[56:57], v[4:5], s[28:29], -v[54:55]
	v_fma_f64 v[54:55], v[4:5], s[28:29], v[54:55]
	v_fma_f64 v[60:61], v[6:7], s[28:29], v[58:59]
	v_fma_f64 v[58:59], v[6:7], s[28:29], -v[58:59]
	s_delay_alu instid0(VALU_DEP_4) | instskip(NEXT) | instid1(VALU_DEP_4)
	v_add_f64 v[56:57], v[56:57], v[64:65]
	v_add_f64 v[54:55], v[54:55], v[62:63]
	v_mul_f64 v[62:63], v[10:11], s[46:47]
	s_delay_alu instid0(VALU_DEP_4) | instskip(SKIP_2) | instid1(VALU_DEP_4)
	v_add_f64 v[58:59], v[58:59], v[66:67]
	v_mul_f64 v[66:67], v[8:9], s[46:47]
	v_add_f64 v[60:61], v[60:61], v[104:105]
	v_fma_f64 v[64:65], v[4:5], s[36:37], -v[62:63]
	v_fma_f64 v[62:63], v[4:5], s[36:37], v[62:63]
	s_delay_alu instid0(VALU_DEP_4) | instskip(SKIP_1) | instid1(VALU_DEP_4)
	v_fma_f64 v[104:105], v[6:7], s[36:37], v[66:67]
	v_fma_f64 v[66:67], v[6:7], s[36:37], -v[66:67]
	v_add_f64 v[64:65], v[64:65], v[108:109]
	s_delay_alu instid0(VALU_DEP_4)
	v_add_f64 v[62:63], v[62:63], v[106:107]
	v_mul_f64 v[106:107], v[10:11], s[48:49]
	v_mul_f64 v[10:11], v[10:11], s[34:35]
	v_add_f64 v[66:67], v[66:67], v[110:111]
	v_mul_f64 v[110:111], v[8:9], s[48:49]
	v_mul_f64 v[8:9], v[8:9], s[34:35]
	v_add_f64 v[104:105], v[104:105], v[112:113]
	v_fma_f64 v[108:109], v[4:5], s[2:3], -v[106:107]
	v_fma_f64 v[106:107], v[4:5], s[2:3], v[106:107]
	v_fma_f64 v[112:113], v[6:7], s[2:3], v[110:111]
	v_fma_f64 v[110:111], v[6:7], s[2:3], -v[110:111]
	s_delay_alu instid0(VALU_DEP_4) | instskip(NEXT) | instid1(VALU_DEP_4)
	v_add_f64 v[108:109], v[108:109], v[116:117]
	v_add_f64 v[106:107], v[106:107], v[114:115]
	v_fma_f64 v[114:115], v[4:5], s[30:31], -v[10:11]
	v_fma_f64 v[4:5], v[4:5], s[30:31], v[10:11]
	v_add_f64 v[10:11], v[18:19], -v[22:23]
	v_fma_f64 v[116:117], v[6:7], s[30:31], v[8:9]
	v_add_f64 v[110:111], v[110:111], v[118:119]
	v_add_f64 v[112:113], v[112:113], v[120:121]
	;; [unrolled: 1-line block ×4, first 2 shown]
	v_fma_f64 v[4:5], v[6:7], s[30:31], -v[8:9]
	v_add_f64 v[8:9], v[16:17], -v[20:21]
	v_add_f64 v[6:7], v[18:19], v[22:23]
	v_add_f64 v[116:117], v[116:117], v[124:125]
	s_delay_alu instid0(VALU_DEP_4) | instskip(SKIP_2) | instid1(VALU_DEP_1)
	v_add_f64 v[2:3], v[4:5], v[2:3]
	v_add_f64 v[4:5], v[16:17], v[20:21]
	v_mul_f64 v[16:17], v[10:11], s[48:49]
	v_fma_f64 v[18:19], v[4:5], s[2:3], -v[16:17]
	v_fma_f64 v[16:17], v[4:5], s[2:3], v[16:17]
	s_delay_alu instid0(VALU_DEP_2) | instskip(SKIP_1) | instid1(VALU_DEP_3)
	v_add_f64 v[14:15], v[18:19], v[14:15]
	v_mul_f64 v[18:19], v[8:9], s[48:49]
	v_add_f64 v[12:13], v[16:17], v[12:13]
	s_delay_alu instid0(VALU_DEP_2) | instskip(SKIP_2) | instid1(VALU_DEP_3)
	v_fma_f64 v[20:21], v[6:7], s[2:3], v[18:19]
	v_fma_f64 v[16:17], v[6:7], s[2:3], -v[18:19]
	v_mul_f64 v[18:19], v[10:11], s[44:45]
	v_add_f64 v[20:21], v[20:21], v[26:27]
	s_delay_alu instid0(VALU_DEP_3) | instskip(NEXT) | instid1(VALU_DEP_3)
	v_add_f64 v[16:17], v[16:17], v[24:25]
	v_fma_f64 v[22:23], v[4:5], s[42:43], -v[18:19]
	v_fma_f64 v[18:19], v[4:5], s[42:43], v[18:19]
	v_mul_f64 v[24:25], v[8:9], s[44:45]
	s_delay_alu instid0(VALU_DEP_3) | instskip(NEXT) | instid1(VALU_DEP_3)
	v_add_f64 v[22:23], v[22:23], v[30:31]
	v_add_f64 v[18:19], v[18:19], v[28:29]
	v_mul_f64 v[28:29], v[10:11], s[54:55]
	s_delay_alu instid0(VALU_DEP_4) | instskip(SKIP_1) | instid1(VALU_DEP_3)
	v_fma_f64 v[26:27], v[6:7], s[42:43], v[24:25]
	v_fma_f64 v[24:25], v[6:7], s[42:43], -v[24:25]
	v_fma_f64 v[30:31], v[4:5], s[14:15], -v[28:29]
	v_fma_f64 v[28:29], v[4:5], s[14:15], v[28:29]
	s_delay_alu instid0(VALU_DEP_3)
	v_add_f64 v[24:25], v[24:25], v[32:33]
	v_mul_f64 v[32:33], v[8:9], s[54:55]
	v_add_f64 v[26:27], v[26:27], v[36:37]
	v_add_f64 v[30:31], v[30:31], v[38:39]
	v_add_f64 v[28:29], v[28:29], v[34:35]
	v_mul_f64 v[34:35], v[10:11], s[40:41]
	v_fma_f64 v[36:37], v[6:7], s[14:15], v[32:33]
	v_fma_f64 v[32:33], v[6:7], s[14:15], -v[32:33]
	s_delay_alu instid0(VALU_DEP_3) | instskip(SKIP_1) | instid1(VALU_DEP_3)
	v_fma_f64 v[38:39], v[4:5], s[36:37], -v[34:35]
	v_fma_f64 v[34:35], v[4:5], s[36:37], v[34:35]
	v_add_f64 v[32:33], v[32:33], v[40:41]
	v_mul_f64 v[40:41], v[8:9], s[40:41]
	v_add_f64 v[36:37], v[36:37], v[42:43]
	v_add_f64 v[38:39], v[38:39], v[46:47]
	v_add_f64 v[34:35], v[34:35], v[44:45]
	v_mul_f64 v[44:45], v[10:11], s[56:57]
	v_fma_f64 v[42:43], v[6:7], s[36:37], v[40:41]
	v_fma_f64 v[40:41], v[6:7], s[36:37], -v[40:41]
	s_delay_alu instid0(VALU_DEP_3) | instskip(SKIP_1) | instid1(VALU_DEP_3)
	v_fma_f64 v[46:47], v[4:5], s[20:21], -v[44:45]
	v_fma_f64 v[44:45], v[4:5], s[20:21], v[44:45]
	;; [unrolled: 11-line block ×3, first 2 shown]
	v_add_f64 v[50:51], v[50:51], v[58:59]
	v_mul_f64 v[58:59], v[8:9], s[34:35]
	v_add_f64 v[52:53], v[52:53], v[60:61]
	v_add_f64 v[56:57], v[56:57], v[64:65]
	;; [unrolled: 1-line block ×3, first 2 shown]
	v_mul_f64 v[62:63], v[10:11], s[52:53]
	v_fma_f64 v[60:61], v[6:7], s[30:31], v[58:59]
	v_fma_f64 v[58:59], v[6:7], s[30:31], -v[58:59]
	v_mul_f64 v[10:11], v[10:11], s[38:39]
	s_delay_alu instid0(VALU_DEP_4) | instskip(SKIP_1) | instid1(VALU_DEP_4)
	v_fma_f64 v[64:65], v[4:5], s[22:23], -v[62:63]
	v_fma_f64 v[62:63], v[4:5], s[22:23], v[62:63]
	v_add_f64 v[58:59], v[58:59], v[66:67]
	v_mul_f64 v[66:67], v[8:9], s[52:53]
	v_mul_f64 v[8:9], v[8:9], s[38:39]
	v_add_f64 v[60:61], v[60:61], v[104:105]
	v_add_f64 v[64:65], v[64:65], v[108:109]
	;; [unrolled: 1-line block ×3, first 2 shown]
	v_fma_f64 v[106:107], v[4:5], s[28:29], -v[10:11]
	v_fma_f64 v[4:5], v[4:5], s[28:29], v[10:11]
	v_add_f64 v[10:11], v[98:99], -v[102:103]
	v_fma_f64 v[108:109], v[6:7], s[28:29], v[8:9]
	v_fma_f64 v[104:105], v[6:7], s[22:23], v[66:67]
	v_fma_f64 v[66:67], v[6:7], s[22:23], -v[66:67]
	v_add_f64 v[106:107], v[106:107], v[114:115]
	v_add_f64 v[0:1], v[4:5], v[0:1]
	v_fma_f64 v[4:5], v[6:7], s[28:29], -v[8:9]
	v_add_f64 v[8:9], v[96:97], -v[100:101]
	v_add_f64 v[6:7], v[98:99], v[102:103]
	v_add_f64 v[66:67], v[66:67], v[110:111]
	;; [unrolled: 1-line block ×6, first 2 shown]
	v_mul_f64 v[96:97], v[10:11], s[16:17]
	s_delay_alu instid0(VALU_DEP_1) | instskip(SKIP_1) | instid1(VALU_DEP_2)
	v_fma_f64 v[98:99], v[4:5], s[14:15], -v[96:97]
	v_fma_f64 v[96:97], v[4:5], s[14:15], v[96:97]
	v_add_f64 v[14:15], v[98:99], v[14:15]
	v_mul_f64 v[98:99], v[8:9], s[16:17]
	s_delay_alu instid0(VALU_DEP_3) | instskip(NEXT) | instid1(VALU_DEP_2)
	v_add_f64 v[12:13], v[96:97], v[12:13]
	v_fma_f64 v[96:97], v[6:7], s[14:15], -v[98:99]
	v_fma_f64 v[100:101], v[6:7], s[14:15], v[98:99]
	s_delay_alu instid0(VALU_DEP_2) | instskip(SKIP_1) | instid1(VALU_DEP_3)
	v_add_f64 v[16:17], v[96:97], v[16:17]
	v_mul_f64 v[96:97], v[10:11], s[58:59]
	v_add_f64 v[20:21], v[100:101], v[20:21]
	s_delay_alu instid0(VALU_DEP_2) | instskip(SKIP_1) | instid1(VALU_DEP_2)
	v_fma_f64 v[98:99], v[4:5], s[30:31], -v[96:97]
	v_fma_f64 v[96:97], v[4:5], s[30:31], v[96:97]
	v_add_f64 v[22:23], v[98:99], v[22:23]
	v_mul_f64 v[98:99], v[8:9], s[58:59]
	s_delay_alu instid0(VALU_DEP_3) | instskip(NEXT) | instid1(VALU_DEP_2)
	v_add_f64 v[18:19], v[96:97], v[18:19]
	v_fma_f64 v[96:97], v[6:7], s[30:31], -v[98:99]
	v_fma_f64 v[100:101], v[6:7], s[30:31], v[98:99]
	s_delay_alu instid0(VALU_DEP_2) | instskip(SKIP_1) | instid1(VALU_DEP_3)
	v_add_f64 v[24:25], v[96:97], v[24:25]
	v_mul_f64 v[96:97], v[10:11], s[38:39]
	v_add_f64 v[26:27], v[100:101], v[26:27]
	s_delay_alu instid0(VALU_DEP_2) | instskip(SKIP_1) | instid1(VALU_DEP_2)
	;; [unrolled: 13-line block ×5, first 2 shown]
	v_fma_f64 v[98:99], v[4:5], s[2:3], -v[96:97]
	v_fma_f64 v[96:97], v[4:5], s[2:3], v[96:97]
	v_add_f64 v[56:57], v[98:99], v[56:57]
	v_mul_f64 v[98:99], v[8:9], s[18:19]
	s_delay_alu instid0(VALU_DEP_3) | instskip(NEXT) | instid1(VALU_DEP_2)
	v_add_f64 v[54:55], v[96:97], v[54:55]
	v_fma_f64 v[96:97], v[6:7], s[2:3], -v[98:99]
	v_fma_f64 v[100:101], v[6:7], s[2:3], v[98:99]
	s_delay_alu instid0(VALU_DEP_2) | instskip(SKIP_2) | instid1(VALU_DEP_4)
	v_add_f64 v[58:59], v[96:97], v[58:59]
	v_mul_f64 v[96:97], v[10:11], s[46:47]
	v_mul_f64 v[10:11], v[10:11], s[26:27]
	v_add_f64 v[60:61], v[100:101], v[60:61]
	s_delay_alu instid0(VALU_DEP_3) | instskip(SKIP_1) | instid1(VALU_DEP_2)
	v_fma_f64 v[98:99], v[4:5], s[36:37], -v[96:97]
	v_fma_f64 v[96:97], v[4:5], s[36:37], v[96:97]
	v_add_f64 v[64:65], v[98:99], v[64:65]
	v_mul_f64 v[98:99], v[8:9], s[46:47]
	s_delay_alu instid0(VALU_DEP_3) | instskip(SKIP_1) | instid1(VALU_DEP_3)
	v_add_f64 v[62:63], v[96:97], v[62:63]
	v_mul_f64 v[8:9], v[8:9], s[26:27]
	v_fma_f64 v[96:97], v[6:7], s[36:37], -v[98:99]
	v_fma_f64 v[100:101], v[6:7], s[36:37], v[98:99]
	s_delay_alu instid0(VALU_DEP_3) | instskip(NEXT) | instid1(VALU_DEP_3)
	v_fma_f64 v[98:99], v[6:7], s[22:23], v[8:9]
	v_add_f64 v[66:67], v[96:97], v[66:67]
	v_fma_f64 v[96:97], v[4:5], s[22:23], -v[10:11]
	v_fma_f64 v[4:5], v[4:5], s[22:23], v[10:11]
	v_add_f64 v[10:11], v[90:91], -v[94:95]
	v_add_f64 v[98:99], v[98:99], v[108:109]
	v_add_f64 v[100:101], v[100:101], v[104:105]
	;; [unrolled: 1-line block ×4, first 2 shown]
	v_fma_f64 v[4:5], v[6:7], s[22:23], -v[8:9]
	v_add_f64 v[8:9], v[88:89], -v[92:93]
	v_add_f64 v[6:7], v[90:91], v[94:95]
	s_delay_alu instid0(VALU_DEP_3) | instskip(SKIP_2) | instid1(VALU_DEP_1)
	v_add_f64 v[2:3], v[4:5], v[2:3]
	v_add_f64 v[4:5], v[88:89], v[92:93]
	v_mul_f64 v[88:89], v[10:11], s[26:27]
	v_fma_f64 v[90:91], v[4:5], s[22:23], -v[88:89]
	v_fma_f64 v[88:89], v[4:5], s[22:23], v[88:89]
	s_delay_alu instid0(VALU_DEP_2) | instskip(SKIP_1) | instid1(VALU_DEP_3)
	v_add_f64 v[14:15], v[90:91], v[14:15]
	v_mul_f64 v[90:91], v[8:9], s[26:27]
	v_add_f64 v[12:13], v[88:89], v[12:13]
	s_delay_alu instid0(VALU_DEP_2) | instskip(SKIP_1) | instid1(VALU_DEP_2)
	v_fma_f64 v[88:89], v[6:7], s[22:23], -v[90:91]
	v_fma_f64 v[92:93], v[6:7], s[22:23], v[90:91]
	v_add_f64 v[16:17], v[88:89], v[16:17]
	v_mul_f64 v[88:89], v[10:11], s[54:55]
	s_delay_alu instid0(VALU_DEP_3) | instskip(NEXT) | instid1(VALU_DEP_2)
	v_add_f64 v[20:21], v[92:93], v[20:21]
	v_fma_f64 v[90:91], v[4:5], s[14:15], -v[88:89]
	v_fma_f64 v[88:89], v[4:5], s[14:15], v[88:89]
	s_delay_alu instid0(VALU_DEP_2) | instskip(SKIP_1) | instid1(VALU_DEP_3)
	v_add_f64 v[22:23], v[90:91], v[22:23]
	v_mul_f64 v[90:91], v[8:9], s[54:55]
	v_add_f64 v[18:19], v[88:89], v[18:19]
	s_delay_alu instid0(VALU_DEP_2) | instskip(SKIP_1) | instid1(VALU_DEP_2)
	v_fma_f64 v[88:89], v[6:7], s[14:15], -v[90:91]
	v_fma_f64 v[92:93], v[6:7], s[14:15], v[90:91]
	v_add_f64 v[24:25], v[88:89], v[24:25]
	v_mul_f64 v[88:89], v[10:11], s[46:47]
	s_delay_alu instid0(VALU_DEP_3) | instskip(NEXT) | instid1(VALU_DEP_2)
	v_add_f64 v[26:27], v[92:93], v[26:27]
	;; [unrolled: 13-line block ×5, first 2 shown]
	v_fma_f64 v[90:91], v[4:5], s[28:29], -v[88:89]
	v_fma_f64 v[88:89], v[4:5], s[28:29], v[88:89]
	s_delay_alu instid0(VALU_DEP_2) | instskip(SKIP_1) | instid1(VALU_DEP_3)
	v_add_f64 v[56:57], v[90:91], v[56:57]
	v_mul_f64 v[90:91], v[8:9], s[50:51]
	v_add_f64 v[54:55], v[88:89], v[54:55]
	s_delay_alu instid0(VALU_DEP_2) | instskip(SKIP_1) | instid1(VALU_DEP_2)
	v_fma_f64 v[88:89], v[6:7], s[28:29], -v[90:91]
	v_fma_f64 v[92:93], v[6:7], s[28:29], v[90:91]
	v_add_f64 v[58:59], v[88:89], v[58:59]
	v_mul_f64 v[88:89], v[10:11], s[44:45]
	v_mul_f64 v[10:11], v[10:11], s[24:25]
	s_delay_alu instid0(VALU_DEP_4) | instskip(NEXT) | instid1(VALU_DEP_3)
	v_add_f64 v[60:61], v[92:93], v[60:61]
	v_fma_f64 v[90:91], v[4:5], s[42:43], -v[88:89]
	v_fma_f64 v[88:89], v[4:5], s[42:43], v[88:89]
	s_delay_alu instid0(VALU_DEP_2) | instskip(SKIP_1) | instid1(VALU_DEP_3)
	v_add_f64 v[64:65], v[90:91], v[64:65]
	v_mul_f64 v[90:91], v[8:9], s[44:45]
	v_add_f64 v[62:63], v[88:89], v[62:63]
	v_mul_f64 v[8:9], v[8:9], s[24:25]
	s_delay_alu instid0(VALU_DEP_3) | instskip(SKIP_1) | instid1(VALU_DEP_2)
	v_fma_f64 v[88:89], v[6:7], s[42:43], -v[90:91]
	v_fma_f64 v[92:93], v[6:7], s[42:43], v[90:91]
	v_add_f64 v[66:67], v[88:89], v[66:67]
	v_fma_f64 v[88:89], v[4:5], s[20:21], -v[10:11]
	v_fma_f64 v[4:5], v[4:5], s[20:21], v[10:11]
	v_add_f64 v[10:11], v[82:83], -v[86:87]
	v_add_f64 v[100:101], v[92:93], v[100:101]
	s_delay_alu instid0(VALU_DEP_4) | instskip(NEXT) | instid1(VALU_DEP_4)
	v_add_f64 v[102:103], v[88:89], v[96:97]
	v_add_f64 v[0:1], v[4:5], v[0:1]
	v_fma_f64 v[4:5], v[6:7], s[20:21], -v[8:9]
	v_fma_f64 v[88:89], v[6:7], s[20:21], v[8:9]
	v_add_f64 v[8:9], v[80:81], -v[84:85]
	v_add_f64 v[6:7], v[82:83], v[86:87]
	s_delay_alu instid0(VALU_DEP_4) | instskip(SKIP_3) | instid1(VALU_DEP_2)
	v_add_f64 v[2:3], v[4:5], v[2:3]
	v_add_f64 v[4:5], v[80:81], v[84:85]
	v_mul_f64 v[80:81], v[10:11], s[34:35]
	v_add_f64 v[104:105], v[88:89], v[98:99]
	v_fma_f64 v[82:83], v[4:5], s[30:31], -v[80:81]
	s_delay_alu instid0(VALU_DEP_1) | instskip(SKIP_1) | instid1(VALU_DEP_1)
	v_add_f64 v[136:137], v[82:83], v[14:15]
	v_mul_f64 v[14:15], v[8:9], s[34:35]
	v_fma_f64 v[82:83], v[6:7], s[30:31], v[14:15]
	s_delay_alu instid0(VALU_DEP_1) | instskip(SKIP_1) | instid1(VALU_DEP_1)
	v_add_f64 v[138:139], v[82:83], v[20:21]
	v_fma_f64 v[20:21], v[4:5], s[30:31], v[80:81]
	v_add_f64 v[140:141], v[20:21], v[12:13]
	v_fma_f64 v[12:13], v[6:7], s[30:31], -v[14:15]
	s_delay_alu instid0(VALU_DEP_1) | instskip(SKIP_1) | instid1(VALU_DEP_1)
	v_add_f64 v[142:143], v[12:13], v[16:17]
	v_mul_f64 v[12:13], v[10:11], s[24:25]
	v_fma_f64 v[14:15], v[4:5], s[20:21], -v[12:13]
	v_fma_f64 v[12:13], v[4:5], s[20:21], v[12:13]
	s_delay_alu instid0(VALU_DEP_2) | instskip(SKIP_1) | instid1(VALU_DEP_3)
	v_add_f64 v[80:81], v[14:15], v[22:23]
	v_mul_f64 v[14:15], v[8:9], s[24:25]
	v_add_f64 v[84:85], v[12:13], v[18:19]
	s_delay_alu instid0(VALU_DEP_2) | instskip(SKIP_1) | instid1(VALU_DEP_2)
	v_fma_f64 v[12:13], v[6:7], s[20:21], -v[14:15]
	v_fma_f64 v[16:17], v[6:7], s[20:21], v[14:15]
	v_add_f64 v[86:87], v[12:13], v[24:25]
	v_mul_f64 v[12:13], v[10:11], s[48:49]
	s_delay_alu instid0(VALU_DEP_3) | instskip(NEXT) | instid1(VALU_DEP_2)
	v_add_f64 v[82:83], v[16:17], v[26:27]
	v_fma_f64 v[14:15], v[4:5], s[2:3], -v[12:13]
	v_fma_f64 v[12:13], v[4:5], s[2:3], v[12:13]
	s_delay_alu instid0(VALU_DEP_2) | instskip(SKIP_1) | instid1(VALU_DEP_3)
	v_add_f64 v[88:89], v[14:15], v[30:31]
	v_mul_f64 v[14:15], v[8:9], s[48:49]
	v_add_f64 v[92:93], v[12:13], v[28:29]
	s_delay_alu instid0(VALU_DEP_2) | instskip(SKIP_1) | instid1(VALU_DEP_2)
	v_fma_f64 v[12:13], v[6:7], s[2:3], -v[14:15]
	v_fma_f64 v[16:17], v[6:7], s[2:3], v[14:15]
	v_add_f64 v[94:95], v[12:13], v[32:33]
	v_mul_f64 v[12:13], v[10:11], s[52:53]
	s_delay_alu instid0(VALU_DEP_3) | instskip(NEXT) | instid1(VALU_DEP_2)
	v_add_f64 v[90:91], v[16:17], v[36:37]
	;; [unrolled: 13-line block ×4, first 2 shown]
	v_fma_f64 v[14:15], v[4:5], s[42:43], -v[12:13]
	v_fma_f64 v[12:13], v[4:5], s[42:43], v[12:13]
	s_delay_alu instid0(VALU_DEP_2) | instskip(SKIP_1) | instid1(VALU_DEP_3)
	v_add_f64 v[120:121], v[14:15], v[56:57]
	v_mul_f64 v[14:15], v[8:9], s[44:45]
	v_add_f64 v[118:119], v[12:13], v[54:55]
	s_delay_alu instid0(VALU_DEP_2) | instskip(SKIP_1) | instid1(VALU_DEP_2)
	v_fma_f64 v[12:13], v[6:7], s[42:43], -v[14:15]
	v_fma_f64 v[16:17], v[6:7], s[42:43], v[14:15]
	v_add_f64 v[116:117], v[12:13], v[58:59]
	v_mul_f64 v[12:13], v[10:11], s[38:39]
	v_mul_f64 v[10:11], v[10:11], s[16:17]
	s_delay_alu instid0(VALU_DEP_4) | instskip(NEXT) | instid1(VALU_DEP_3)
	v_add_f64 v[122:123], v[16:17], v[60:61]
	v_fma_f64 v[14:15], v[4:5], s[28:29], -v[12:13]
	v_fma_f64 v[12:13], v[4:5], s[28:29], v[12:13]
	s_delay_alu instid0(VALU_DEP_2) | instskip(SKIP_1) | instid1(VALU_DEP_3)
	v_add_f64 v[112:113], v[14:15], v[64:65]
	v_mul_f64 v[14:15], v[8:9], s[38:39]
	v_add_f64 v[110:111], v[12:13], v[62:63]
	v_mul_f64 v[8:9], v[8:9], s[16:17]
	s_delay_alu instid0(VALU_DEP_3) | instskip(SKIP_1) | instid1(VALU_DEP_2)
	v_fma_f64 v[12:13], v[6:7], s[28:29], -v[14:15]
	v_fma_f64 v[16:17], v[6:7], s[28:29], v[14:15]
	v_add_f64 v[108:109], v[12:13], v[66:67]
	v_fma_f64 v[12:13], v[4:5], s[14:15], -v[10:11]
	v_fma_f64 v[4:5], v[4:5], s[14:15], v[10:11]
	s_delay_alu instid0(VALU_DEP_4) | instskip(NEXT) | instid1(VALU_DEP_3)
	v_add_f64 v[114:115], v[16:17], v[100:101]
	v_add_f64 v[106:107], v[12:13], v[102:103]
	v_fma_f64 v[12:13], v[6:7], s[14:15], v[8:9]
	s_delay_alu instid0(VALU_DEP_4) | instskip(SKIP_4) | instid1(VALU_DEP_4)
	v_add_f64 v[102:103], v[4:5], v[0:1]
	v_fma_f64 v[0:1], v[6:7], s[14:15], -v[8:9]
	v_add_f64 v[6:7], v[74:75], -v[78:79]
	v_add_f64 v[4:5], v[72:73], -v[76:77]
	v_add_f64 v[104:105], v[12:13], v[104:105]
	v_add_f64 v[100:101], v[0:1], v[2:3]
	;; [unrolled: 1-line block ×3, first 2 shown]
	v_mul_f64 v[8:9], v[6:7], s[44:45]
	v_add_f64 v[0:1], v[74:75], v[78:79]
	v_mul_f64 v[16:17], v[6:7], s[26:27]
	v_mul_f64 v[18:19], v[4:5], s[26:27]
	;; [unrolled: 1-line block ×6, first 2 shown]
	v_fma_f64 v[10:11], v[2:3], s[42:43], -v[8:9]
	v_fma_f64 v[8:9], v[2:3], s[42:43], v[8:9]
	v_fma_f64 v[14:15], v[0:1], s[22:23], v[18:19]
	v_fma_f64 v[20:21], v[2:3], s[20:21], -v[24:25]
	v_fma_f64 v[22:23], v[0:1], s[20:21], v[26:27]
	v_fma_f64 v[28:29], v[2:3], s[14:15], -v[32:33]
	;; [unrolled: 2-line block ×5, first 2 shown]
	v_add_f64 v[76:77], v[10:11], v[136:137]
	v_mul_f64 v[10:11], v[4:5], s[44:45]
	v_add_f64 v[72:73], v[8:9], v[140:141]
	v_add_f64 v[14:15], v[14:15], v[130:131]
	;; [unrolled: 1-line block ×11, first 2 shown]
	v_fma_f64 v[8:9], v[0:1], s[42:43], -v[10:11]
	v_fma_f64 v[12:13], v[0:1], s[42:43], v[10:11]
	s_delay_alu instid0(VALU_DEP_2) | instskip(SKIP_1) | instid1(VALU_DEP_3)
	v_add_f64 v[74:75], v[8:9], v[142:143]
	v_mul_f64 v[8:9], v[6:7], s[40:41]
	v_add_f64 v[78:79], v[12:13], v[138:139]
	s_delay_alu instid0(VALU_DEP_2) | instskip(SKIP_1) | instid1(VALU_DEP_2)
	v_fma_f64 v[10:11], v[2:3], s[36:37], -v[8:9]
	v_fma_f64 v[8:9], v[2:3], s[36:37], v[8:9]
	v_add_f64 v[80:81], v[10:11], v[80:81]
	v_mul_f64 v[10:11], v[4:5], s[40:41]
	s_delay_alu instid0(VALU_DEP_3) | instskip(NEXT) | instid1(VALU_DEP_2)
	v_add_f64 v[84:85], v[8:9], v[84:85]
	v_fma_f64 v[8:9], v[0:1], s[36:37], -v[10:11]
	v_fma_f64 v[12:13], v[0:1], s[36:37], v[10:11]
	s_delay_alu instid0(VALU_DEP_2) | instskip(SKIP_1) | instid1(VALU_DEP_3)
	v_add_f64 v[86:87], v[8:9], v[86:87]
	v_mul_f64 v[8:9], v[6:7], s[34:35]
	v_add_f64 v[82:83], v[12:13], v[82:83]
	s_delay_alu instid0(VALU_DEP_2) | instskip(SKIP_1) | instid1(VALU_DEP_2)
	v_fma_f64 v[10:11], v[2:3], s[30:31], -v[8:9]
	v_fma_f64 v[8:9], v[2:3], s[30:31], v[8:9]
	v_add_f64 v[88:89], v[10:11], v[88:89]
	v_mul_f64 v[10:11], v[4:5], s[34:35]
	s_delay_alu instid0(VALU_DEP_3) | instskip(NEXT) | instid1(VALU_DEP_2)
	v_add_f64 v[92:93], v[8:9], v[92:93]
	v_fma_f64 v[8:9], v[0:1], s[30:31], -v[10:11]
	v_fma_f64 v[12:13], v[0:1], s[30:31], v[10:11]
	s_delay_alu instid0(VALU_DEP_2) | instskip(SKIP_1) | instid1(VALU_DEP_3)
	v_add_f64 v[94:95], v[8:9], v[94:95]
	v_mul_f64 v[8:9], v[6:7], s[38:39]
	v_add_f64 v[90:91], v[12:13], v[90:91]
	v_mul_f64 v[6:7], v[6:7], s[18:19]
	s_delay_alu instid0(VALU_DEP_3) | instskip(SKIP_1) | instid1(VALU_DEP_3)
	v_fma_f64 v[10:11], v[2:3], s[28:29], -v[8:9]
	v_fma_f64 v[8:9], v[2:3], s[28:29], v[8:9]
	v_fma_f64 v[36:37], v[2:3], s[2:3], -v[6:7]
	s_delay_alu instid0(VALU_DEP_3) | instskip(SKIP_2) | instid1(VALU_DEP_4)
	v_add_f64 v[96:97], v[10:11], v[96:97]
	v_mul_f64 v[10:11], v[4:5], s[38:39]
	v_mul_f64 v[4:5], v[4:5], s[18:19]
	v_add_f64 v[36:37], v[36:37], v[106:107]
	v_add_f64 v[8:9], v[8:9], v[134:135]
	s_delay_alu instid0(VALU_DEP_4) | instskip(NEXT) | instid1(VALU_DEP_4)
	v_fma_f64 v[12:13], v[0:1], s[28:29], v[10:11]
	v_fma_f64 v[38:39], v[0:1], s[2:3], v[4:5]
	v_fma_f64 v[10:11], v[0:1], s[28:29], -v[10:11]
	v_fma_f64 v[0:1], v[0:1], s[2:3], -v[4:5]
	s_delay_alu instid0(VALU_DEP_4)
	v_add_f64 v[98:99], v[12:13], v[98:99]
	v_fma_f64 v[12:13], v[2:3], s[22:23], -v[16:17]
	v_fma_f64 v[16:17], v[2:3], s[22:23], v[16:17]
	v_fma_f64 v[2:3], v[2:3], s[2:3], v[6:7]
	v_add_f64 v[38:39], v[38:39], v[104:105]
	v_add_f64 v[4:5], v[0:1], v[100:101]
	;; [unrolled: 1-line block ×3, first 2 shown]
	v_mul_lo_u16 v0, v49, 17
	s_delay_alu instid0(VALU_DEP_1) | instskip(NEXT) | instid1(VALU_DEP_1)
	v_and_b32_e32 v0, 0xffff, v0
	v_lshl_add_u32 v212, v0, 4, v48
	v_add_f64 v[12:13], v[12:13], v[128:129]
	v_add_f64 v[16:17], v[16:17], v[126:127]
	;; [unrolled: 1-line block ×3, first 2 shown]
	ds_store_b128 v212, v[68:71]
	ds_store_b128 v212, v[76:79] offset:16
	ds_store_b128 v212, v[80:83] offset:32
	;; [unrolled: 1-line block ×16, first 2 shown]
	v_lshlrev_b64 v[12:13], 8, v[192:193]
	s_waitcnt lgkmcnt(0)
	s_barrier
	buffer_gl0_inv
	ds_load_b128 v[136:139], v255
	ds_load_b128 v[0:3], v255 offset:544
	ds_load_b128 v[4:7], v255 offset:1088
	ds_load_b128 v[8:11], v255 offset:1632
	ds_load_b128 v[24:27], v255 offset:2176
	ds_load_b128 v[28:31], v255 offset:2720
	ds_load_b128 v[32:35], v255 offset:3264
	ds_load_b128 v[36:39], v255 offset:3808
	ds_load_b128 v[40:43], v255 offset:4352
	ds_load_b128 v[44:47], v255 offset:4896
	ds_load_b128 v[50:53], v255 offset:5440
	ds_load_b128 v[54:57], v255 offset:5984
	ds_load_b128 v[58:61], v255 offset:6528
	ds_load_b128 v[148:151], v255 offset:7072
	ds_load_b128 v[144:147], v255 offset:7616
	ds_load_b128 v[140:143], v255 offset:8160
	ds_load_b128 v[132:135], v255 offset:8704
	scratch_store_b32 off, v152, off        ; 4-byte Folded Spill
	v_add_co_u32 v12, s0, s10, v12
	s_delay_alu instid0(VALU_DEP_1)
	v_add_co_ci_u32_e64 v13, s0, s11, v13, s0
	s_clause 0x3
	global_load_b128 v[66:69], v[12:13], off offset:48
	global_load_b128 v[70:73], v[12:13], off offset:32
	;; [unrolled: 1-line block ×3, first 2 shown]
	global_load_b128 v[96:99], v[12:13], off
	v_cmp_lt_u16_e64 s0, 16, v49
	s_waitcnt vmcnt(3)
	scratch_store_b128 off, v[66:69], off offset:316 ; 16-byte Folded Spill
	s_waitcnt vmcnt(2)
	scratch_store_b128 off, v[70:73], off offset:332 ; 16-byte Folded Spill
	;; [unrolled: 2-line block ×3, first 2 shown]
	s_waitcnt vmcnt(0) lgkmcnt(15)
	v_mul_f64 v[14:15], v[2:3], v[98:99]
	s_delay_alu instid0(VALU_DEP_1) | instskip(SKIP_1) | instid1(VALU_DEP_1)
	v_fma_f64 v[62:63], v[0:1], v[96:97], -v[14:15]
	v_mul_f64 v[0:1], v[0:1], v[98:99]
	v_fma_f64 v[64:65], v[2:3], v[96:97], v[0:1]
	s_waitcnt lgkmcnt(14)
	v_mul_f64 v[0:1], v[6:7], v[18:19]
	s_delay_alu instid0(VALU_DEP_1) | instskip(SKIP_1) | instid1(VALU_DEP_1)
	v_fma_f64 v[22:23], v[4:5], v[16:17], -v[0:1]
	v_mul_f64 v[0:1], v[4:5], v[18:19]
	v_fma_f64 v[20:21], v[6:7], v[16:17], v[0:1]
	s_waitcnt lgkmcnt(13)
	;; [unrolled: 6-line block ×3, first 2 shown]
	v_mul_f64 v[0:1], v[26:27], v[68:69]
	s_delay_alu instid0(VALU_DEP_1) | instskip(SKIP_1) | instid1(VALU_DEP_1)
	v_fma_f64 v[10:11], v[24:25], v[66:67], -v[0:1]
	v_mul_f64 v[0:1], v[24:25], v[68:69]
	v_fma_f64 v[8:9], v[26:27], v[66:67], v[0:1]
	s_clause 0x3
	global_load_b128 v[24:27], v[12:13], off offset:112
	global_load_b128 v[88:91], v[12:13], off offset:96
	;; [unrolled: 1-line block ×4, first 2 shown]
	s_waitcnt vmcnt(3)
	scratch_store_b128 off, v[24:27], off offset:364 ; 16-byte Folded Spill
	s_waitcnt vmcnt(2) lgkmcnt(9)
	v_mul_f64 v[2:3], v[38:39], v[90:91]
	s_clause 0x3
	global_load_b128 v[92:95], v[12:13], off offset:176
	global_load_b128 v[104:107], v[12:13], off offset:160
	;; [unrolled: 1-line block ×4, first 2 shown]
	s_waitcnt vmcnt(4)
	v_mul_f64 v[0:1], v[30:31], v[110:111]
	v_fma_f64 v[164:165], v[36:37], v[88:89], -v[2:3]
	v_mul_f64 v[2:3], v[36:37], v[90:91]
	s_delay_alu instid0(VALU_DEP_3) | instskip(SKIP_1) | instid1(VALU_DEP_3)
	v_fma_f64 v[4:5], v[28:29], v[108:109], -v[0:1]
	v_mul_f64 v[0:1], v[28:29], v[110:111]
	v_fma_f64 v[160:161], v[38:39], v[88:89], v[2:3]
	s_clause 0x3
	global_load_b128 v[36:39], v[12:13], off offset:240
	global_load_b128 v[116:119], v[12:13], off offset:224
	global_load_b128 v[124:127], v[12:13], off offset:208
	global_load_b128 v[128:131], v[12:13], off offset:192
	v_fma_f64 v[172:173], v[30:31], v[108:109], v[0:1]
	v_mul_f64 v[0:1], v[34:35], v[102:103]
	s_waitcnt lgkmcnt(8)
	v_mul_f64 v[2:3], v[42:43], v[26:27]
	s_delay_alu instid0(VALU_DEP_2) | instskip(SKIP_1) | instid1(VALU_DEP_3)
	v_fma_f64 v[168:169], v[32:33], v[100:101], -v[0:1]
	v_mul_f64 v[0:1], v[32:33], v[102:103]
	v_fma_f64 v[156:157], v[40:41], v[24:25], -v[2:3]
	v_mul_f64 v[2:3], v[40:41], v[26:27]
	s_delay_alu instid0(VALU_DEP_3) | instskip(NEXT) | instid1(VALU_DEP_2)
	v_fma_f64 v[0:1], v[34:35], v[100:101], v[0:1]
	v_fma_f64 v[152:153], v[42:43], v[24:25], v[2:3]
	s_waitcnt vmcnt(7) lgkmcnt(4)
	v_mul_f64 v[6:7], v[60:61], v[94:95]
	v_mul_f64 v[16:17], v[58:59], v[94:95]
	s_waitcnt vmcnt(4)
	v_mul_f64 v[2:3], v[46:47], v[122:123]
	s_delay_alu instid0(VALU_DEP_3) | instskip(NEXT) | instid1(VALU_DEP_3)
	v_fma_f64 v[6:7], v[58:59], v[92:93], -v[6:7]
	v_fma_f64 v[174:175], v[60:61], v[92:93], v[16:17]
	s_delay_alu instid0(VALU_DEP_3)
	v_fma_f64 v[158:159], v[44:45], v[120:121], -v[2:3]
	v_mul_f64 v[2:3], v[44:45], v[122:123]
	s_waitcnt vmcnt(3) lgkmcnt(0)
	v_mul_f64 v[32:33], v[134:135], v[38:39]
	v_mul_f64 v[34:35], v[132:133], v[38:39]
	scratch_store_b128 off, v[36:39], off offset:300 ; 16-byte Folded Spill
	v_add_f64 v[38:39], v[138:139], v[64:65]
	v_fma_f64 v[154:155], v[46:47], v[120:121], v[2:3]
	v_mul_f64 v[2:3], v[52:53], v[114:115]
	s_waitcnt vmcnt(0)
	v_mul_f64 v[12:13], v[150:151], v[130:131]
	v_mul_f64 v[24:25], v[146:147], v[126:127]
	;; [unrolled: 1-line block ×3, first 2 shown]
	s_waitcnt_vscnt null, 0x0
	s_barrier
	buffer_gl0_inv
	v_fma_f64 v[32:33], v[132:133], v[36:37], -v[32:33]
	v_fma_f64 v[34:35], v[134:135], v[36:37], v[34:35]
	v_add_f64 v[36:37], v[136:137], v[62:63]
	v_add_f64 v[38:39], v[38:39], v[20:21]
	v_fma_f64 v[166:167], v[50:51], v[112:113], -v[2:3]
	v_mul_f64 v[2:3], v[50:51], v[114:115]
	v_fma_f64 v[16:17], v[148:149], v[128:129], -v[12:13]
	v_mul_f64 v[12:13], v[148:149], v[130:131]
	;; [unrolled: 2-line block ×4, first 2 shown]
	v_add_f64 v[36:37], v[36:37], v[22:23]
	v_add_f64 v[38:39], v[38:39], v[14:15]
	v_fma_f64 v[162:163], v[52:53], v[112:113], v[2:3]
	v_mul_f64 v[2:3], v[56:57], v[106:107]
	v_fma_f64 v[12:13], v[150:151], v[128:129], v[12:13]
	v_fma_f64 v[24:25], v[146:147], v[124:125], v[24:25]
	;; [unrolled: 1-line block ×3, first 2 shown]
	v_add_f64 v[36:37], v[36:37], v[18:19]
	v_add_f64 v[38:39], v[38:39], v[8:9]
	v_fma_f64 v[170:171], v[54:55], v[104:105], -v[2:3]
	v_mul_f64 v[2:3], v[54:55], v[106:107]
	s_delay_alu instid0(VALU_DEP_4) | instskip(NEXT) | instid1(VALU_DEP_4)
	v_add_f64 v[36:37], v[36:37], v[10:11]
	v_add_f64 v[38:39], v[38:39], v[172:173]
	s_delay_alu instid0(VALU_DEP_3) | instskip(NEXT) | instid1(VALU_DEP_3)
	v_fma_f64 v[2:3], v[56:57], v[104:105], v[2:3]
	v_add_f64 v[36:37], v[36:37], v[4:5]
	s_delay_alu instid0(VALU_DEP_3) | instskip(NEXT) | instid1(VALU_DEP_2)
	v_add_f64 v[38:39], v[38:39], v[0:1]
	v_add_f64 v[36:37], v[36:37], v[168:169]
	s_delay_alu instid0(VALU_DEP_2) | instskip(NEXT) | instid1(VALU_DEP_2)
	v_add_f64 v[38:39], v[38:39], v[160:161]
	v_add_f64 v[36:37], v[36:37], v[164:165]
	s_delay_alu instid0(VALU_DEP_2) | instskip(NEXT) | instid1(VALU_DEP_2)
	;; [unrolled: 3-line block ×9, first 2 shown]
	v_add_f64 v[38:39], v[38:39], v[28:29]
	v_add_f64 v[36:37], v[36:37], v[30:31]
	s_delay_alu instid0(VALU_DEP_2) | instskip(SKIP_2) | instid1(VALU_DEP_4)
	v_add_f64 v[134:135], v[38:39], v[34:35]
	v_add_f64 v[38:39], v[64:65], v[34:35]
	v_add_f64 v[34:35], v[64:65], -v[34:35]
	v_add_f64 v[132:133], v[36:37], v[32:33]
	v_add_f64 v[36:37], v[62:63], v[32:33]
	v_add_f64 v[32:33], v[62:63], -v[32:33]
	s_delay_alu instid0(VALU_DEP_4)
	v_mul_f64 v[40:41], v[34:35], s[46:47]
	v_mul_f64 v[50:51], v[34:35], s[50:51]
	;; [unrolled: 1-line block ×16, first 2 shown]
	v_fma_f64 v[42:43], v[36:37], s[36:37], -v[40:41]
	v_fma_f64 v[40:41], v[36:37], s[36:37], v[40:41]
	v_fma_f64 v[52:53], v[36:37], s[28:29], -v[50:51]
	v_fma_f64 v[50:51], v[36:37], s[28:29], v[50:51]
	;; [unrolled: 2-line block ×8, first 2 shown]
	v_add_f64 v[36:37], v[22:23], v[30:31]
	v_add_f64 v[22:23], v[22:23], -v[30:31]
	v_fma_f64 v[46:47], v[38:39], s[36:37], v[44:45]
	v_fma_f64 v[44:45], v[38:39], s[36:37], -v[44:45]
	v_fma_f64 v[56:57], v[38:39], s[28:29], v[54:55]
	v_fma_f64 v[54:55], v[38:39], s[28:29], -v[54:55]
	;; [unrolled: 2-line block ×8, first 2 shown]
	v_add_f64 v[38:39], v[20:21], v[28:29]
	v_add_f64 v[20:21], v[20:21], -v[28:29]
	v_add_f64 v[42:43], v[136:137], v[42:43]
	v_add_f64 v[40:41], v[136:137], v[40:41]
	;; [unrolled: 1-line block ×32, first 2 shown]
	v_mul_f64 v[28:29], v[20:21], s[50:51]
	s_delay_alu instid0(VALU_DEP_1) | instskip(SKIP_1) | instid1(VALU_DEP_2)
	v_fma_f64 v[30:31], v[36:37], s[28:29], -v[28:29]
	v_fma_f64 v[28:29], v[36:37], s[28:29], v[28:29]
	v_add_f64 v[30:31], v[30:31], v[42:43]
	v_mul_f64 v[42:43], v[22:23], s[50:51]
	s_delay_alu instid0(VALU_DEP_3) | instskip(NEXT) | instid1(VALU_DEP_2)
	v_add_f64 v[28:29], v[28:29], v[40:41]
	v_fma_f64 v[136:137], v[38:39], s[28:29], v[42:43]
	v_fma_f64 v[40:41], v[38:39], s[28:29], -v[42:43]
	v_mul_f64 v[42:43], v[20:21], s[48:49]
	s_delay_alu instid0(VALU_DEP_3) | instskip(NEXT) | instid1(VALU_DEP_3)
	v_add_f64 v[46:47], v[136:137], v[46:47]
	v_add_f64 v[40:41], v[40:41], v[44:45]
	s_delay_alu instid0(VALU_DEP_3) | instskip(SKIP_1) | instid1(VALU_DEP_2)
	v_fma_f64 v[44:45], v[36:37], s[2:3], -v[42:43]
	v_fma_f64 v[42:43], v[36:37], s[2:3], v[42:43]
	v_add_f64 v[44:45], v[44:45], v[52:53]
	v_mul_f64 v[52:53], v[22:23], s[48:49]
	s_delay_alu instid0(VALU_DEP_3) | instskip(NEXT) | instid1(VALU_DEP_2)
	v_add_f64 v[42:43], v[42:43], v[50:51]
	v_fma_f64 v[136:137], v[38:39], s[2:3], v[52:53]
	v_fma_f64 v[50:51], v[38:39], s[2:3], -v[52:53]
	v_mul_f64 v[52:53], v[20:21], s[26:27]
	s_delay_alu instid0(VALU_DEP_3) | instskip(NEXT) | instid1(VALU_DEP_3)
	v_add_f64 v[56:57], v[136:137], v[56:57]
	v_add_f64 v[50:51], v[50:51], v[54:55]
	s_delay_alu instid0(VALU_DEP_3) | instskip(SKIP_1) | instid1(VALU_DEP_2)
	v_fma_f64 v[54:55], v[36:37], s[22:23], -v[52:53]
	v_fma_f64 v[52:53], v[36:37], s[22:23], v[52:53]
	v_add_f64 v[54:55], v[54:55], v[60:61]
	v_mul_f64 v[60:61], v[22:23], s[26:27]
	s_delay_alu instid0(VALU_DEP_3) | instskip(NEXT) | instid1(VALU_DEP_2)
	v_add_f64 v[52:53], v[52:53], v[58:59]
	v_fma_f64 v[136:137], v[38:39], s[22:23], v[60:61]
	v_fma_f64 v[58:59], v[38:39], s[22:23], -v[60:61]
	v_mul_f64 v[60:61], v[20:21], s[44:45]
	s_delay_alu instid0(VALU_DEP_3) | instskip(NEXT) | instid1(VALU_DEP_3)
	v_add_f64 v[64:65], v[136:137], v[64:65]
	v_add_f64 v[58:59], v[58:59], v[62:63]
	s_delay_alu instid0(VALU_DEP_3) | instskip(SKIP_2) | instid1(VALU_DEP_3)
	v_fma_f64 v[62:63], v[36:37], s[42:43], -v[60:61]
	v_mul_f64 v[136:137], v[22:23], s[44:45]
	v_fma_f64 v[60:61], v[36:37], s[42:43], v[60:61]
	v_add_f64 v[62:63], v[62:63], v[140:141]
	s_delay_alu instid0(VALU_DEP_3) | instskip(NEXT) | instid1(VALU_DEP_3)
	v_fma_f64 v[138:139], v[38:39], s[42:43], v[136:137]
	v_add_f64 v[60:61], v[60:61], v[66:67]
	v_fma_f64 v[66:67], v[38:39], s[42:43], -v[136:137]
	v_mul_f64 v[136:137], v[20:21], s[58:59]
	s_delay_alu instid0(VALU_DEP_4) | instskip(NEXT) | instid1(VALU_DEP_3)
	v_add_f64 v[138:139], v[138:139], v[144:145]
	v_add_f64 v[66:67], v[66:67], v[142:143]
	s_delay_alu instid0(VALU_DEP_3) | instskip(SKIP_2) | instid1(VALU_DEP_3)
	v_fma_f64 v[140:141], v[36:37], s[30:31], -v[136:137]
	v_fma_f64 v[136:137], v[36:37], s[30:31], v[136:137]
	v_mul_f64 v[142:143], v[22:23], s[58:59]
	v_add_f64 v[140:141], v[140:141], v[148:149]
	s_delay_alu instid0(VALU_DEP_3) | instskip(SKIP_1) | instid1(VALU_DEP_4)
	v_add_f64 v[136:137], v[136:137], v[146:147]
	v_mul_f64 v[146:147], v[20:21], s[54:55]
	v_fma_f64 v[144:145], v[38:39], s[30:31], v[142:143]
	v_fma_f64 v[142:143], v[38:39], s[30:31], -v[142:143]
	s_delay_alu instid0(VALU_DEP_3) | instskip(SKIP_1) | instid1(VALU_DEP_3)
	v_fma_f64 v[148:149], v[36:37], s[14:15], -v[146:147]
	v_fma_f64 v[146:147], v[36:37], s[14:15], v[146:147]
	v_add_f64 v[142:143], v[142:143], v[150:151]
	v_mul_f64 v[150:151], v[22:23], s[54:55]
	v_add_f64 v[144:145], v[144:145], v[176:177]
	v_add_f64 v[148:149], v[148:149], v[180:181]
	;; [unrolled: 1-line block ×3, first 2 shown]
	v_mul_f64 v[178:179], v[20:21], s[24:25]
	v_fma_f64 v[176:177], v[38:39], s[14:15], v[150:151]
	v_fma_f64 v[150:151], v[38:39], s[14:15], -v[150:151]
	v_mul_f64 v[20:21], v[20:21], s[40:41]
	s_delay_alu instid0(VALU_DEP_4) | instskip(SKIP_1) | instid1(VALU_DEP_4)
	v_fma_f64 v[180:181], v[36:37], s[20:21], -v[178:179]
	v_fma_f64 v[178:179], v[36:37], s[20:21], v[178:179]
	v_add_f64 v[150:151], v[150:151], v[182:183]
	v_mul_f64 v[182:183], v[22:23], s[24:25]
	v_mul_f64 v[22:23], v[22:23], s[40:41]
	v_add_f64 v[176:177], v[176:177], v[184:185]
	v_add_f64 v[180:181], v[180:181], v[188:189]
	;; [unrolled: 1-line block ×3, first 2 shown]
	v_fma_f64 v[186:187], v[36:37], s[36:37], -v[20:21]
	v_fma_f64 v[20:21], v[36:37], s[36:37], v[20:21]
	v_fma_f64 v[188:189], v[38:39], s[36:37], v[22:23]
	v_fma_f64 v[22:23], v[38:39], s[36:37], -v[22:23]
	v_fma_f64 v[184:185], v[38:39], s[20:21], v[182:183]
	v_fma_f64 v[182:183], v[38:39], s[20:21], -v[182:183]
	v_add_f64 v[186:187], v[186:187], v[195:196]
	v_add_f64 v[20:21], v[20:21], v[34:35]
	;; [unrolled: 1-line block ×3, first 2 shown]
	v_add_f64 v[14:15], v[14:15], -v[24:25]
	v_add_f64 v[22:23], v[22:23], v[32:33]
	v_add_f64 v[32:33], v[18:19], v[26:27]
	v_add_f64 v[18:19], v[18:19], -v[26:27]
	v_add_f64 v[182:183], v[182:183], v[190:191]
	v_add_f64 v[188:189], v[188:189], v[197:198]
	v_add_f64 v[184:185], v[184:185], v[193:194]
	v_mul_f64 v[24:25], v[14:15], s[56:57]
	s_delay_alu instid0(VALU_DEP_1) | instskip(SKIP_1) | instid1(VALU_DEP_2)
	v_fma_f64 v[26:27], v[32:33], s[20:21], -v[24:25]
	v_fma_f64 v[24:25], v[32:33], s[20:21], v[24:25]
	v_add_f64 v[26:27], v[26:27], v[30:31]
	v_mul_f64 v[30:31], v[18:19], s[56:57]
	s_delay_alu instid0(VALU_DEP_3) | instskip(NEXT) | instid1(VALU_DEP_2)
	v_add_f64 v[24:25], v[24:25], v[28:29]
	v_fma_f64 v[36:37], v[34:35], s[20:21], v[30:31]
	v_fma_f64 v[28:29], v[34:35], s[20:21], -v[30:31]
	v_mul_f64 v[30:31], v[14:15], s[26:27]
	s_delay_alu instid0(VALU_DEP_3) | instskip(NEXT) | instid1(VALU_DEP_3)
	v_add_f64 v[36:37], v[36:37], v[46:47]
	v_add_f64 v[28:29], v[28:29], v[40:41]
	s_delay_alu instid0(VALU_DEP_3) | instskip(SKIP_2) | instid1(VALU_DEP_3)
	v_fma_f64 v[38:39], v[32:33], s[22:23], -v[30:31]
	v_mul_f64 v[40:41], v[18:19], s[26:27]
	v_fma_f64 v[30:31], v[32:33], s[22:23], v[30:31]
	v_add_f64 v[38:39], v[38:39], v[44:45]
	s_delay_alu instid0(VALU_DEP_3) | instskip(NEXT) | instid1(VALU_DEP_3)
	v_fma_f64 v[44:45], v[34:35], s[22:23], v[40:41]
	v_add_f64 v[30:31], v[30:31], v[42:43]
	v_fma_f64 v[40:41], v[34:35], s[22:23], -v[40:41]
	v_mul_f64 v[42:43], v[14:15], s[60:61]
	s_delay_alu instid0(VALU_DEP_4) | instskip(NEXT) | instid1(VALU_DEP_3)
	v_add_f64 v[44:45], v[44:45], v[56:57]
	v_add_f64 v[40:41], v[40:41], v[50:51]
	s_delay_alu instid0(VALU_DEP_3) | instskip(SKIP_2) | instid1(VALU_DEP_3)
	v_fma_f64 v[46:47], v[32:33], s[42:43], -v[42:43]
	v_mul_f64 v[50:51], v[18:19], s[60:61]
	v_fma_f64 v[42:43], v[32:33], s[42:43], v[42:43]
	v_add_f64 v[46:47], v[46:47], v[54:55]
	s_delay_alu instid0(VALU_DEP_3) | instskip(NEXT) | instid1(VALU_DEP_3)
	v_fma_f64 v[54:55], v[34:35], s[42:43], v[50:51]
	v_add_f64 v[42:43], v[42:43], v[52:53]
	v_fma_f64 v[50:51], v[34:35], s[42:43], -v[50:51]
	v_mul_f64 v[52:53], v[14:15], s[54:55]
	s_delay_alu instid0(VALU_DEP_4) | instskip(NEXT) | instid1(VALU_DEP_3)
	;; [unrolled: 13-line block ×4, first 2 shown]
	v_add_f64 v[138:139], v[138:139], v[144:145]
	v_add_f64 v[66:67], v[66:67], v[142:143]
	s_delay_alu instid0(VALU_DEP_3) | instskip(SKIP_2) | instid1(VALU_DEP_3)
	v_fma_f64 v[140:141], v[32:33], s[36:37], -v[136:137]
	v_mul_f64 v[142:143], v[18:19], s[46:47]
	v_fma_f64 v[136:137], v[32:33], s[36:37], v[136:137]
	v_add_f64 v[140:141], v[140:141], v[148:149]
	s_delay_alu instid0(VALU_DEP_3) | instskip(NEXT) | instid1(VALU_DEP_3)
	v_fma_f64 v[144:145], v[34:35], s[36:37], v[142:143]
	v_add_f64 v[136:137], v[136:137], v[146:147]
	v_fma_f64 v[142:143], v[34:35], s[36:37], -v[142:143]
	v_mul_f64 v[146:147], v[14:15], s[48:49]
	v_mul_f64 v[14:15], v[14:15], s[34:35]
	v_add_f64 v[144:145], v[144:145], v[176:177]
	s_delay_alu instid0(VALU_DEP_4) | instskip(NEXT) | instid1(VALU_DEP_4)
	v_add_f64 v[142:143], v[142:143], v[150:151]
	v_fma_f64 v[148:149], v[32:33], s[2:3], -v[146:147]
	v_mul_f64 v[150:151], v[18:19], s[48:49]
	v_mul_f64 v[18:19], v[18:19], s[34:35]
	v_fma_f64 v[146:147], v[32:33], s[2:3], v[146:147]
	s_delay_alu instid0(VALU_DEP_4) | instskip(NEXT) | instid1(VALU_DEP_4)
	v_add_f64 v[148:149], v[148:149], v[180:181]
	v_fma_f64 v[176:177], v[34:35], s[2:3], v[150:151]
	s_delay_alu instid0(VALU_DEP_4)
	v_fma_f64 v[180:181], v[34:35], s[30:31], v[18:19]
	v_fma_f64 v[18:19], v[34:35], s[30:31], -v[18:19]
	v_add_f64 v[146:147], v[146:147], v[178:179]
	v_fma_f64 v[178:179], v[32:33], s[30:31], -v[14:15]
	v_fma_f64 v[14:15], v[32:33], s[30:31], v[14:15]
	v_fma_f64 v[150:151], v[34:35], s[2:3], -v[150:151]
	v_add_f64 v[176:177], v[176:177], v[184:185]
	v_add_f64 v[180:181], v[180:181], v[188:189]
	;; [unrolled: 1-line block ×4, first 2 shown]
	v_add_f64 v[8:9], v[8:9], -v[12:13]
	v_add_f64 v[14:15], v[14:15], v[20:21]
	v_add_f64 v[20:21], v[10:11], v[16:17]
	v_add_f64 v[10:11], v[10:11], -v[16:17]
	v_add_f64 v[150:151], v[150:151], v[182:183]
	v_add_f64 v[178:179], v[178:179], v[186:187]
	v_mul_f64 v[12:13], v[8:9], s[48:49]
	s_delay_alu instid0(VALU_DEP_4) | instskip(NEXT) | instid1(VALU_DEP_2)
	v_mul_f64 v[34:35], v[10:11], s[44:45]
	v_fma_f64 v[16:17], v[20:21], s[2:3], -v[12:13]
	v_fma_f64 v[12:13], v[20:21], s[2:3], v[12:13]
	s_delay_alu instid0(VALU_DEP_2) | instskip(SKIP_1) | instid1(VALU_DEP_3)
	v_add_f64 v[16:17], v[16:17], v[26:27]
	v_mul_f64 v[26:27], v[10:11], s[48:49]
	v_add_f64 v[12:13], v[12:13], v[24:25]
	s_delay_alu instid0(VALU_DEP_2) | instskip(SKIP_2) | instid1(VALU_DEP_3)
	v_fma_f64 v[32:33], v[22:23], s[2:3], v[26:27]
	v_fma_f64 v[24:25], v[22:23], s[2:3], -v[26:27]
	v_mul_f64 v[26:27], v[8:9], s[44:45]
	v_add_f64 v[32:33], v[32:33], v[36:37]
	s_delay_alu instid0(VALU_DEP_3) | instskip(NEXT) | instid1(VALU_DEP_3)
	v_add_f64 v[24:25], v[24:25], v[28:29]
	v_fma_f64 v[28:29], v[20:21], s[42:43], -v[26:27]
	v_fma_f64 v[26:27], v[20:21], s[42:43], v[26:27]
	v_fma_f64 v[36:37], v[22:23], s[42:43], v[34:35]
	s_delay_alu instid0(VALU_DEP_3) | instskip(NEXT) | instid1(VALU_DEP_3)
	v_add_f64 v[28:29], v[28:29], v[38:39]
	v_add_f64 v[26:27], v[26:27], v[30:31]
	v_fma_f64 v[30:31], v[22:23], s[42:43], -v[34:35]
	v_mul_f64 v[34:35], v[8:9], s[54:55]
	v_add_f64 v[36:37], v[36:37], v[44:45]
	s_delay_alu instid0(VALU_DEP_3) | instskip(NEXT) | instid1(VALU_DEP_3)
	v_add_f64 v[30:31], v[30:31], v[40:41]
	v_fma_f64 v[38:39], v[20:21], s[14:15], -v[34:35]
	v_fma_f64 v[34:35], v[20:21], s[14:15], v[34:35]
	v_mul_f64 v[40:41], v[10:11], s[54:55]
	s_delay_alu instid0(VALU_DEP_3) | instskip(NEXT) | instid1(VALU_DEP_3)
	v_add_f64 v[38:39], v[38:39], v[46:47]
	v_add_f64 v[34:35], v[34:35], v[42:43]
	v_mul_f64 v[42:43], v[8:9], s[40:41]
	s_delay_alu instid0(VALU_DEP_4) | instskip(SKIP_1) | instid1(VALU_DEP_3)
	v_fma_f64 v[44:45], v[22:23], s[14:15], v[40:41]
	v_fma_f64 v[40:41], v[22:23], s[14:15], -v[40:41]
	v_fma_f64 v[46:47], v[20:21], s[36:37], -v[42:43]
	v_fma_f64 v[42:43], v[20:21], s[36:37], v[42:43]
	s_delay_alu instid0(VALU_DEP_3)
	v_add_f64 v[40:41], v[40:41], v[50:51]
	v_mul_f64 v[50:51], v[10:11], s[40:41]
	v_add_f64 v[44:45], v[44:45], v[54:55]
	v_add_f64 v[46:47], v[46:47], v[56:57]
	;; [unrolled: 1-line block ×3, first 2 shown]
	v_mul_f64 v[52:53], v[8:9], s[56:57]
	v_fma_f64 v[54:55], v[22:23], s[36:37], v[50:51]
	v_fma_f64 v[50:51], v[22:23], s[36:37], -v[50:51]
	s_delay_alu instid0(VALU_DEP_3) | instskip(SKIP_1) | instid1(VALU_DEP_3)
	v_fma_f64 v[56:57], v[20:21], s[20:21], -v[52:53]
	v_fma_f64 v[52:53], v[20:21], s[20:21], v[52:53]
	v_add_f64 v[50:51], v[50:51], v[58:59]
	v_mul_f64 v[58:59], v[10:11], s[56:57]
	v_add_f64 v[54:55], v[54:55], v[62:63]
	v_add_f64 v[56:57], v[56:57], v[64:65]
	;; [unrolled: 1-line block ×3, first 2 shown]
	v_mul_f64 v[60:61], v[8:9], s[34:35]
	v_fma_f64 v[62:63], v[22:23], s[20:21], v[58:59]
	v_fma_f64 v[58:59], v[22:23], s[20:21], -v[58:59]
	s_delay_alu instid0(VALU_DEP_3) | instskip(SKIP_1) | instid1(VALU_DEP_3)
	v_fma_f64 v[64:65], v[20:21], s[30:31], -v[60:61]
	v_fma_f64 v[60:61], v[20:21], s[30:31], v[60:61]
	v_add_f64 v[58:59], v[58:59], v[66:67]
	v_mul_f64 v[66:67], v[10:11], s[34:35]
	v_add_f64 v[62:63], v[62:63], v[138:139]
	v_add_f64 v[64:65], v[64:65], v[140:141]
	;; [unrolled: 1-line block ×3, first 2 shown]
	v_mul_f64 v[136:137], v[8:9], s[52:53]
	v_mul_f64 v[8:9], v[8:9], s[38:39]
	v_fma_f64 v[138:139], v[22:23], s[30:31], v[66:67]
	v_fma_f64 v[66:67], v[22:23], s[30:31], -v[66:67]
	s_delay_alu instid0(VALU_DEP_4) | instskip(SKIP_1) | instid1(VALU_DEP_4)
	v_fma_f64 v[140:141], v[20:21], s[22:23], -v[136:137]
	v_fma_f64 v[136:137], v[20:21], s[22:23], v[136:137]
	v_add_f64 v[138:139], v[138:139], v[144:145]
	s_delay_alu instid0(VALU_DEP_4)
	v_add_f64 v[66:67], v[66:67], v[142:143]
	v_mul_f64 v[142:143], v[10:11], s[52:53]
	v_mul_f64 v[10:11], v[10:11], s[38:39]
	v_add_f64 v[140:141], v[140:141], v[148:149]
	v_add_f64 v[136:137], v[136:137], v[146:147]
	v_fma_f64 v[146:147], v[20:21], s[28:29], -v[8:9]
	v_fma_f64 v[8:9], v[20:21], s[28:29], v[8:9]
	v_fma_f64 v[144:145], v[22:23], s[22:23], v[142:143]
	v_fma_f64 v[142:143], v[22:23], s[22:23], -v[142:143]
	v_fma_f64 v[148:149], v[22:23], s[28:29], v[10:11]
	v_fma_f64 v[10:11], v[22:23], s[28:29], -v[10:11]
	v_add_f64 v[146:147], v[146:147], v[178:179]
	v_add_f64 v[8:9], v[8:9], v[14:15]
	;; [unrolled: 1-line block ×3, first 2 shown]
	v_add_f64 v[4:5], v[4:5], -v[6:7]
	v_add_f64 v[6:7], v[172:173], -v[174:175]
	v_add_f64 v[10:11], v[10:11], v[18:19]
	v_add_f64 v[18:19], v[172:173], v[174:175]
	;; [unrolled: 1-line block ×5, first 2 shown]
	v_mul_f64 v[20:21], v[6:7], s[16:17]
	s_delay_alu instid0(VALU_DEP_1) | instskip(SKIP_1) | instid1(VALU_DEP_2)
	v_fma_f64 v[22:23], v[14:15], s[14:15], -v[20:21]
	v_fma_f64 v[20:21], v[14:15], s[14:15], v[20:21]
	v_add_f64 v[16:17], v[22:23], v[16:17]
	v_mul_f64 v[22:23], v[4:5], s[16:17]
	s_delay_alu instid0(VALU_DEP_3) | instskip(NEXT) | instid1(VALU_DEP_2)
	v_add_f64 v[12:13], v[20:21], v[12:13]
	v_fma_f64 v[150:151], v[18:19], s[14:15], v[22:23]
	v_fma_f64 v[20:21], v[18:19], s[14:15], -v[22:23]
	v_mul_f64 v[22:23], v[6:7], s[58:59]
	s_delay_alu instid0(VALU_DEP_3) | instskip(NEXT) | instid1(VALU_DEP_3)
	v_add_f64 v[32:33], v[150:151], v[32:33]
	v_add_f64 v[20:21], v[20:21], v[24:25]
	s_delay_alu instid0(VALU_DEP_3) | instskip(SKIP_1) | instid1(VALU_DEP_2)
	v_fma_f64 v[24:25], v[14:15], s[30:31], -v[22:23]
	v_fma_f64 v[22:23], v[14:15], s[30:31], v[22:23]
	v_add_f64 v[24:25], v[24:25], v[28:29]
	v_mul_f64 v[28:29], v[4:5], s[58:59]
	s_delay_alu instid0(VALU_DEP_3) | instskip(NEXT) | instid1(VALU_DEP_2)
	v_add_f64 v[22:23], v[22:23], v[26:27]
	v_fma_f64 v[150:151], v[18:19], s[30:31], v[28:29]
	v_fma_f64 v[26:27], v[18:19], s[30:31], -v[28:29]
	v_mul_f64 v[28:29], v[6:7], s[38:39]
	s_delay_alu instid0(VALU_DEP_3) | instskip(NEXT) | instid1(VALU_DEP_3)
	v_add_f64 v[36:37], v[150:151], v[36:37]
	v_add_f64 v[26:27], v[26:27], v[30:31]
	s_delay_alu instid0(VALU_DEP_3) | instskip(SKIP_1) | instid1(VALU_DEP_2)
	;; [unrolled: 13-line block ×5, first 2 shown]
	v_fma_f64 v[58:59], v[14:15], s[2:3], -v[56:57]
	v_fma_f64 v[56:57], v[14:15], s[2:3], v[56:57]
	v_add_f64 v[58:59], v[58:59], v[64:65]
	v_mul_f64 v[64:65], v[4:5], s[18:19]
	s_delay_alu instid0(VALU_DEP_3) | instskip(NEXT) | instid1(VALU_DEP_2)
	v_add_f64 v[56:57], v[56:57], v[60:61]
	v_fma_f64 v[150:151], v[18:19], s[2:3], v[64:65]
	v_fma_f64 v[60:61], v[18:19], s[2:3], -v[64:65]
	v_mul_f64 v[64:65], v[6:7], s[46:47]
	v_mul_f64 v[6:7], v[6:7], s[26:27]
	s_delay_alu instid0(VALU_DEP_4) | instskip(NEXT) | instid1(VALU_DEP_4)
	v_add_f64 v[138:139], v[150:151], v[138:139]
	v_add_f64 v[60:61], v[60:61], v[66:67]
	s_delay_alu instid0(VALU_DEP_4) | instskip(SKIP_1) | instid1(VALU_DEP_2)
	v_fma_f64 v[66:67], v[14:15], s[36:37], -v[64:65]
	v_fma_f64 v[64:65], v[14:15], s[36:37], v[64:65]
	v_add_f64 v[66:67], v[66:67], v[140:141]
	v_mul_f64 v[140:141], v[4:5], s[46:47]
	s_delay_alu instid0(VALU_DEP_3) | instskip(SKIP_1) | instid1(VALU_DEP_3)
	v_add_f64 v[64:65], v[64:65], v[136:137]
	v_mul_f64 v[4:5], v[4:5], s[26:27]
	v_fma_f64 v[136:137], v[18:19], s[36:37], -v[140:141]
	v_fma_f64 v[150:151], v[18:19], s[36:37], v[140:141]
	v_fma_f64 v[140:141], v[14:15], s[22:23], -v[6:7]
	v_fma_f64 v[6:7], v[14:15], s[22:23], v[6:7]
	v_add_f64 v[14:15], v[168:169], -v[170:171]
	v_add_f64 v[136:137], v[136:137], v[142:143]
	v_fma_f64 v[142:143], v[18:19], s[22:23], v[4:5]
	v_fma_f64 v[4:5], v[18:19], s[22:23], -v[4:5]
	v_add_f64 v[6:7], v[6:7], v[8:9]
	v_add_f64 v[8:9], v[168:169], v[170:171]
	;; [unrolled: 1-line block ×7, first 2 shown]
	v_add_f64 v[0:1], v[0:1], -v[2:3]
	s_delay_alu instid0(VALU_DEP_1) | instskip(NEXT) | instid1(VALU_DEP_1)
	v_mul_f64 v[2:3], v[0:1], s[26:27]
	v_fma_f64 v[18:19], v[8:9], s[22:23], -v[2:3]
	v_fma_f64 v[2:3], v[8:9], s[22:23], v[2:3]
	s_delay_alu instid0(VALU_DEP_2) | instskip(SKIP_1) | instid1(VALU_DEP_3)
	v_add_f64 v[16:17], v[18:19], v[16:17]
	v_mul_f64 v[18:19], v[14:15], s[26:27]
	v_add_f64 v[2:3], v[2:3], v[12:13]
	s_delay_alu instid0(VALU_DEP_2) | instskip(SKIP_2) | instid1(VALU_DEP_3)
	v_fma_f64 v[146:147], v[10:11], s[22:23], v[18:19]
	v_fma_f64 v[12:13], v[10:11], s[22:23], -v[18:19]
	v_mul_f64 v[18:19], v[0:1], s[54:55]
	v_add_f64 v[32:33], v[146:147], v[32:33]
	s_delay_alu instid0(VALU_DEP_3) | instskip(NEXT) | instid1(VALU_DEP_3)
	v_add_f64 v[12:13], v[12:13], v[20:21]
	v_fma_f64 v[20:21], v[8:9], s[14:15], -v[18:19]
	v_fma_f64 v[18:19], v[8:9], s[14:15], v[18:19]
	s_delay_alu instid0(VALU_DEP_2) | instskip(SKIP_1) | instid1(VALU_DEP_3)
	v_add_f64 v[20:21], v[20:21], v[24:25]
	v_mul_f64 v[24:25], v[14:15], s[54:55]
	v_add_f64 v[18:19], v[18:19], v[22:23]
	s_delay_alu instid0(VALU_DEP_2) | instskip(SKIP_2) | instid1(VALU_DEP_3)
	v_fma_f64 v[146:147], v[10:11], s[14:15], v[24:25]
	v_fma_f64 v[22:23], v[10:11], s[14:15], -v[24:25]
	v_mul_f64 v[24:25], v[0:1], s[46:47]
	v_add_f64 v[36:37], v[146:147], v[36:37]
	s_delay_alu instid0(VALU_DEP_3) | instskip(NEXT) | instid1(VALU_DEP_3)
	v_add_f64 v[22:23], v[22:23], v[26:27]
	;; [unrolled: 13-line block ×4, first 2 shown]
	v_fma_f64 v[42:43], v[8:9], s[2:3], -v[40:41]
	v_fma_f64 v[40:41], v[8:9], s[2:3], v[40:41]
	s_delay_alu instid0(VALU_DEP_2) | instskip(SKIP_1) | instid1(VALU_DEP_1)
	v_add_f64 v[50:51], v[42:43], v[50:51]
	v_mul_f64 v[42:43], v[14:15], s[18:19]
	v_fma_f64 v[146:147], v[10:11], s[2:3], v[42:43]
	s_delay_alu instid0(VALU_DEP_1) | instskip(SKIP_2) | instid1(VALU_DEP_1)
	v_add_f64 v[62:63], v[146:147], v[62:63]
	v_add_f64 v[146:147], v[40:41], v[46:47]
	v_fma_f64 v[40:41], v[10:11], s[2:3], -v[42:43]
	v_add_f64 v[52:53], v[40:41], v[52:53]
	v_mul_f64 v[40:41], v[0:1], s[50:51]
	s_delay_alu instid0(VALU_DEP_1) | instskip(SKIP_1) | instid1(VALU_DEP_2)
	v_fma_f64 v[42:43], v[8:9], s[28:29], -v[40:41]
	v_fma_f64 v[40:41], v[8:9], s[28:29], v[40:41]
	v_add_f64 v[58:59], v[42:43], v[58:59]
	v_mul_f64 v[42:43], v[14:15], s[50:51]
	s_delay_alu instid0(VALU_DEP_3) | instskip(NEXT) | instid1(VALU_DEP_2)
	v_add_f64 v[56:57], v[40:41], v[56:57]
	v_fma_f64 v[40:41], v[10:11], s[28:29], -v[42:43]
	v_fma_f64 v[46:47], v[10:11], s[28:29], v[42:43]
	s_delay_alu instid0(VALU_DEP_2) | instskip(SKIP_2) | instid1(VALU_DEP_4)
	v_add_f64 v[60:61], v[40:41], v[60:61]
	v_mul_f64 v[40:41], v[0:1], s[44:45]
	v_mul_f64 v[0:1], v[0:1], s[24:25]
	v_add_f64 v[138:139], v[46:47], v[138:139]
	s_delay_alu instid0(VALU_DEP_3) | instskip(SKIP_1) | instid1(VALU_DEP_2)
	v_fma_f64 v[42:43], v[8:9], s[42:43], -v[40:41]
	v_fma_f64 v[40:41], v[8:9], s[42:43], v[40:41]
	v_add_f64 v[66:67], v[42:43], v[66:67]
	v_mul_f64 v[42:43], v[14:15], s[44:45]
	s_delay_alu instid0(VALU_DEP_3) | instskip(SKIP_1) | instid1(VALU_DEP_3)
	v_add_f64 v[64:65], v[40:41], v[64:65]
	v_mul_f64 v[14:15], v[14:15], s[24:25]
	v_fma_f64 v[40:41], v[10:11], s[42:43], -v[42:43]
	v_fma_f64 v[46:47], v[10:11], s[42:43], v[42:43]
	s_delay_alu instid0(VALU_DEP_2) | instskip(SKIP_4) | instid1(VALU_DEP_4)
	v_add_f64 v[136:137], v[40:41], v[136:137]
	v_fma_f64 v[40:41], v[8:9], s[20:21], -v[0:1]
	v_fma_f64 v[0:1], v[8:9], s[20:21], v[0:1]
	v_add_f64 v[8:9], v[164:165], -v[166:167]
	v_add_f64 v[144:145], v[46:47], v[144:145]
	v_add_f64 v[140:141], v[40:41], v[140:141]
	v_fma_f64 v[40:41], v[10:11], s[20:21], v[14:15]
	v_add_f64 v[0:1], v[0:1], v[6:7]
	v_fma_f64 v[6:7], v[10:11], s[20:21], -v[14:15]
	v_add_f64 v[10:11], v[160:161], -v[162:163]
	v_add_f64 v[14:15], v[160:161], v[162:163]
	v_add_f64 v[142:143], v[40:41], v[142:143]
	s_delay_alu instid0(VALU_DEP_4) | instskip(SKIP_2) | instid1(VALU_DEP_1)
	v_add_f64 v[6:7], v[6:7], v[4:5]
	v_add_f64 v[4:5], v[164:165], v[166:167]
	v_mul_f64 v[40:41], v[10:11], s[34:35]
	v_fma_f64 v[42:43], v[4:5], s[30:31], -v[40:41]
	s_delay_alu instid0(VALU_DEP_1) | instskip(SKIP_1) | instid1(VALU_DEP_1)
	v_add_f64 v[148:149], v[42:43], v[16:17]
	v_mul_f64 v[16:17], v[8:9], s[34:35]
	v_fma_f64 v[42:43], v[14:15], s[30:31], v[16:17]
	s_delay_alu instid0(VALU_DEP_1) | instskip(SKIP_1) | instid1(VALU_DEP_1)
	v_add_f64 v[150:151], v[42:43], v[32:33]
	v_fma_f64 v[32:33], v[4:5], s[30:31], v[40:41]
	v_add_f64 v[160:161], v[32:33], v[2:3]
	v_fma_f64 v[2:3], v[14:15], s[30:31], -v[16:17]
	s_delay_alu instid0(VALU_DEP_1) | instskip(SKIP_1) | instid1(VALU_DEP_1)
	v_add_f64 v[162:163], v[2:3], v[12:13]
	v_mul_f64 v[2:3], v[10:11], s[24:25]
	v_fma_f64 v[12:13], v[4:5], s[20:21], -v[2:3]
	v_fma_f64 v[2:3], v[4:5], s[20:21], v[2:3]
	s_delay_alu instid0(VALU_DEP_2) | instskip(SKIP_1) | instid1(VALU_DEP_3)
	v_add_f64 v[164:165], v[12:13], v[20:21]
	v_mul_f64 v[12:13], v[8:9], s[24:25]
	v_add_f64 v[168:169], v[2:3], v[18:19]
	s_delay_alu instid0(VALU_DEP_2) | instskip(SKIP_1) | instid1(VALU_DEP_2)
	v_fma_f64 v[2:3], v[14:15], s[20:21], -v[12:13]
	v_fma_f64 v[16:17], v[14:15], s[20:21], v[12:13]
	v_add_f64 v[170:171], v[2:3], v[22:23]
	v_mul_f64 v[2:3], v[10:11], s[48:49]
	s_delay_alu instid0(VALU_DEP_3) | instskip(NEXT) | instid1(VALU_DEP_2)
	v_add_f64 v[166:167], v[16:17], v[36:37]
	v_fma_f64 v[12:13], v[4:5], s[2:3], -v[2:3]
	v_fma_f64 v[2:3], v[4:5], s[2:3], v[2:3]
	s_delay_alu instid0(VALU_DEP_2) | instskip(SKIP_1) | instid1(VALU_DEP_3)
	v_add_f64 v[176:177], v[12:13], v[26:27]
	v_mul_f64 v[12:13], v[8:9], s[48:49]
	v_add_f64 v[180:181], v[2:3], v[24:25]
	s_delay_alu instid0(VALU_DEP_2) | instskip(SKIP_1) | instid1(VALU_DEP_2)
	v_fma_f64 v[2:3], v[14:15], s[2:3], -v[12:13]
	v_fma_f64 v[16:17], v[14:15], s[2:3], v[12:13]
	v_add_f64 v[182:183], v[2:3], v[28:29]
	v_mul_f64 v[2:3], v[10:11], s[52:53]
	s_delay_alu instid0(VALU_DEP_3) | instskip(NEXT) | instid1(VALU_DEP_2)
	v_add_f64 v[178:179], v[16:17], v[44:45]
	;; [unrolled: 13-line block ×5, first 2 shown]
	v_fma_f64 v[12:13], v[4:5], s[28:29], -v[2:3]
	v_fma_f64 v[2:3], v[4:5], s[28:29], v[2:3]
	s_delay_alu instid0(VALU_DEP_2) | instskip(SKIP_1) | instid1(VALU_DEP_3)
	v_add_f64 v[22:23], v[12:13], v[66:67]
	v_mul_f64 v[12:13], v[8:9], s[38:39]
	v_add_f64 v[18:19], v[2:3], v[64:65]
	s_delay_alu instid0(VALU_DEP_2) | instskip(SKIP_2) | instid1(VALU_DEP_3)
	v_fma_f64 v[16:17], v[14:15], s[28:29], v[12:13]
	v_fma_f64 v[2:3], v[14:15], s[28:29], -v[12:13]
	v_mul_f64 v[12:13], v[8:9], s[16:17]
	v_add_f64 v[20:21], v[16:17], v[144:145]
	s_delay_alu instid0(VALU_DEP_3) | instskip(SKIP_1) | instid1(VALU_DEP_4)
	v_add_f64 v[16:17], v[2:3], v[136:137]
	v_mul_f64 v[2:3], v[10:11], s[16:17]
	v_fma_f64 v[8:9], v[14:15], s[14:15], v[12:13]
	s_delay_alu instid0(VALU_DEP_2) | instskip(SKIP_1) | instid1(VALU_DEP_3)
	v_fma_f64 v[10:11], v[4:5], s[14:15], -v[2:3]
	v_fma_f64 v[2:3], v[4:5], s[14:15], v[2:3]
	v_add_f64 v[8:9], v[8:9], v[142:143]
	s_delay_alu instid0(VALU_DEP_3) | instskip(NEXT) | instid1(VALU_DEP_3)
	v_add_f64 v[10:11], v[10:11], v[140:141]
	v_add_f64 v[4:5], v[2:3], v[0:1]
	v_fma_f64 v[0:1], v[14:15], s[14:15], -v[12:13]
	v_add_f64 v[14:15], v[152:153], -v[154:155]
	v_add_f64 v[12:13], v[156:157], -v[158:159]
	v_add_f64 v[2:3], v[152:153], v[154:155]
	s_delay_alu instid0(VALU_DEP_4) | instskip(SKIP_2) | instid1(VALU_DEP_1)
	v_add_f64 v[0:1], v[0:1], v[6:7]
	v_add_f64 v[6:7], v[156:157], v[158:159]
	v_mul_f64 v[50:51], v[14:15], s[44:45]
	v_fma_f64 v[52:53], v[6:7], s[42:43], -v[50:51]
	v_fma_f64 v[50:51], v[6:7], s[42:43], v[50:51]
	s_delay_alu instid0(VALU_DEP_2) | instskip(SKIP_1) | instid1(VALU_DEP_3)
	v_add_f64 v[136:137], v[52:53], v[148:149]
	v_mul_f64 v[52:53], v[12:13], s[44:45]
	v_add_f64 v[172:173], v[50:51], v[160:161]
	s_delay_alu instid0(VALU_DEP_2) | instskip(SKIP_1) | instid1(VALU_DEP_2)
	v_fma_f64 v[50:51], v[2:3], s[42:43], -v[52:53]
	v_fma_f64 v[54:55], v[2:3], s[42:43], v[52:53]
	v_add_f64 v[174:175], v[50:51], v[162:163]
	v_mul_f64 v[50:51], v[14:15], s[40:41]
	s_delay_alu instid0(VALU_DEP_3) | instskip(NEXT) | instid1(VALU_DEP_2)
	v_add_f64 v[138:139], v[54:55], v[150:151]
	v_fma_f64 v[52:53], v[6:7], s[36:37], -v[50:51]
	v_fma_f64 v[50:51], v[6:7], s[36:37], v[50:51]
	s_delay_alu instid0(VALU_DEP_2) | instskip(SKIP_1) | instid1(VALU_DEP_3)
	v_add_f64 v[144:145], v[52:53], v[164:165]
	v_mul_f64 v[52:53], v[12:13], s[40:41]
	v_add_f64 v[140:141], v[50:51], v[168:169]
	s_delay_alu instid0(VALU_DEP_2) | instskip(SKIP_1) | instid1(VALU_DEP_2)
	v_fma_f64 v[50:51], v[2:3], s[36:37], -v[52:53]
	v_fma_f64 v[54:55], v[2:3], s[36:37], v[52:53]
	v_add_f64 v[142:143], v[50:51], v[170:171]
	v_mul_f64 v[50:51], v[14:15], s[34:35]
	s_delay_alu instid0(VALU_DEP_3) | instskip(NEXT) | instid1(VALU_DEP_2)
	v_add_f64 v[146:147], v[54:55], v[166:167]
	;; [unrolled: 13-line block ×3, first 2 shown]
	v_fma_f64 v[52:53], v[6:7], s[28:29], -v[50:51]
	s_delay_alu instid0(VALU_DEP_1) | instskip(SKIP_1) | instid1(VALU_DEP_1)
	v_add_f64 v[160:161], v[52:53], v[46:47]
	v_mul_f64 v[46:47], v[12:13], s[38:39]
	v_fma_f64 v[52:53], v[2:3], s[28:29], v[46:47]
	s_delay_alu instid0(VALU_DEP_1) | instskip(SKIP_1) | instid1(VALU_DEP_1)
	v_add_f64 v[162:163], v[52:53], v[44:45]
	v_fma_f64 v[44:45], v[6:7], s[28:29], v[50:51]
	v_add_f64 v[156:157], v[44:45], v[42:43]
	v_fma_f64 v[42:43], v[2:3], s[28:29], -v[46:47]
	s_delay_alu instid0(VALU_DEP_1) | instskip(SKIP_1) | instid1(VALU_DEP_1)
	v_add_f64 v[158:159], v[42:43], v[40:41]
	v_mul_f64 v[40:41], v[14:15], s[26:27]
	v_fma_f64 v[42:43], v[6:7], s[22:23], -v[40:41]
	s_delay_alu instid0(VALU_DEP_1) | instskip(SKIP_1) | instid1(VALU_DEP_1)
	v_add_f64 v[168:169], v[42:43], v[38:39]
	v_mul_f64 v[38:39], v[12:13], s[26:27]
	v_fma_f64 v[42:43], v[2:3], s[22:23], v[38:39]
	s_delay_alu instid0(VALU_DEP_1) | instskip(SKIP_1) | instid1(VALU_DEP_1)
	v_add_f64 v[170:171], v[42:43], v[36:37]
	v_fma_f64 v[36:37], v[6:7], s[22:23], v[40:41]
	v_add_f64 v[164:165], v[36:37], v[34:35]
	v_fma_f64 v[34:35], v[2:3], s[22:23], -v[38:39]
	s_delay_alu instid0(VALU_DEP_1) | instskip(SKIP_1) | instid1(VALU_DEP_1)
	v_add_f64 v[166:167], v[34:35], v[32:33]
	v_mul_f64 v[32:33], v[14:15], s[24:25]
	v_fma_f64 v[34:35], v[6:7], s[20:21], -v[32:33]
	s_delay_alu instid0(VALU_DEP_1) | instskip(SKIP_1) | instid1(VALU_DEP_1)
	v_add_f64 v[176:177], v[34:35], v[30:31]
	v_mul_f64 v[30:31], v[12:13], s[24:25]
	v_fma_f64 v[34:35], v[2:3], s[20:21], v[30:31]
	s_delay_alu instid0(VALU_DEP_1) | instskip(SKIP_1) | instid1(VALU_DEP_1)
	v_add_f64 v[178:179], v[34:35], v[28:29]
	v_fma_f64 v[28:29], v[6:7], s[20:21], v[32:33]
	v_add_f64 v[180:181], v[28:29], v[26:27]
	v_fma_f64 v[26:27], v[2:3], s[20:21], -v[30:31]
	s_delay_alu instid0(VALU_DEP_1) | instskip(SKIP_2) | instid1(VALU_DEP_2)
	v_add_f64 v[182:183], v[26:27], v[24:25]
	v_mul_f64 v[24:25], v[14:15], s[16:17]
	v_mul_f64 v[14:15], v[14:15], s[18:19]
	v_fma_f64 v[26:27], v[6:7], s[14:15], -v[24:25]
	s_delay_alu instid0(VALU_DEP_1) | instskip(SKIP_1) | instid1(VALU_DEP_1)
	v_add_f64 v[184:185], v[26:27], v[22:23]
	v_mul_f64 v[22:23], v[12:13], s[16:17]
	v_fma_f64 v[26:27], v[2:3], s[14:15], v[22:23]
	s_delay_alu instid0(VALU_DEP_1) | instskip(SKIP_1) | instid1(VALU_DEP_1)
	v_add_f64 v[186:187], v[26:27], v[20:21]
	v_fma_f64 v[20:21], v[6:7], s[14:15], v[24:25]
	v_add_f64 v[188:189], v[20:21], v[18:19]
	v_fma_f64 v[18:19], v[2:3], s[14:15], -v[22:23]
	s_delay_alu instid0(VALU_DEP_1) | instskip(SKIP_2) | instid1(VALU_DEP_2)
	v_add_f64 v[190:191], v[18:19], v[16:17]
	v_fma_f64 v[16:17], v[6:7], s[2:3], -v[14:15]
	v_fma_f64 v[6:7], v[6:7], s[2:3], v[14:15]
	v_add_f64 v[10:11], v[16:17], v[10:11]
	v_mul_f64 v[16:17], v[12:13], s[18:19]
	s_delay_alu instid0(VALU_DEP_3) | instskip(NEXT) | instid1(VALU_DEP_2)
	v_add_f64 v[4:5], v[6:7], v[4:5]
	v_fma_f64 v[12:13], v[2:3], s[2:3], v[16:17]
	v_fma_f64 v[2:3], v[2:3], s[2:3], -v[16:17]
	s_delay_alu instid0(VALU_DEP_2) | instskip(NEXT) | instid1(VALU_DEP_2)
	v_add_f64 v[12:13], v[12:13], v[8:9]
	v_add_f64 v[6:7], v[2:3], v[0:1]
	v_cndmask_b32_e64 v0, 0, 0x121, s0
	s_delay_alu instid0(VALU_DEP_1) | instskip(NEXT) | instid1(VALU_DEP_1)
	v_add_nc_u32_e32 v0, v192, v0
	v_lshl_add_u32 v44, v0, 4, v48
	ds_store_b128 v44, v[132:135]
	ds_store_b128 v44, v[136:139] offset:272
	ds_store_b128 v44, v[144:147] offset:544
	ds_store_b128 v44, v[152:155] offset:816
	ds_store_b128 v44, v[160:163] offset:1088
	ds_store_b128 v44, v[168:171] offset:1360
	ds_store_b128 v44, v[176:179] offset:1632
	ds_store_b128 v44, v[184:187] offset:1904
	ds_store_b128 v44, v[10:13] offset:2176
	ds_store_b128 v44, v[4:7] offset:2448
	ds_store_b128 v44, v[188:191] offset:2720
	ds_store_b128 v44, v[180:183] offset:2992
	ds_store_b128 v44, v[164:167] offset:3264
	ds_store_b128 v44, v[156:159] offset:3536
	ds_store_b128 v44, v[148:151] offset:3808
	ds_store_b128 v44, v[140:143] offset:4080
	ds_store_b128 v44, v[172:175] offset:4352
	s_waitcnt lgkmcnt(0)
	s_barrier
	buffer_gl0_inv
	ds_load_b128 v[196:199], v255
	ds_load_b128 v[140:143], v255 offset:4624
	ds_load_b128 v[192:195], v255 offset:544
	;; [unrolled: 1-line block ×15, first 2 shown]
	s_and_saveexec_b32 s0, vcc_lo
	s_cbranch_execz .LBB0_3
; %bb.2:
	ds_load_b128 v[172:175], v255 offset:4352
	ds_load_b128 v[200:203], v255 offset:8976
	v_dual_mov_b32 v211, v209 :: v_dual_mov_b32 v210, v208
.LBB0_3:
	s_or_b32 exec_lo, exec_lo, s0
	v_lshlrev_b32_e32 v0, 4, v208
	scratch_load_b32 v43, off, off          ; 4-byte Folded Reload
	global_load_b128 v[5:8], v0, s[10:11]
	s_waitcnt vmcnt(0) lgkmcnt(14)
	v_mul_f64 v[0:1], v[142:143], v[7:8]
	v_mul_f64 v[3:4], v[140:141], v[7:8]
	scratch_store_b128 off, v[5:8], off offset:380 ; 16-byte Folded Spill
	v_fma_f64 v[1:2], v[140:141], v[5:6], -v[0:1]
	v_lshlrev_b32_e32 v0, 4, v43
	v_fma_f64 v[3:4], v[142:143], v[5:6], v[3:4]
	s_delay_alu instid0(VALU_DEP_2) | instskip(NEXT) | instid1(VALU_DEP_1)
	v_add_co_u32 v5, s0, s10, v0
	v_add_co_ci_u32_e64 v6, null, s11, 0, s0
	s_delay_alu instid0(VALU_DEP_2) | instskip(NEXT) | instid1(VALU_DEP_1)
	v_add_co_u32 v5, s0, 0x1000, v5
	v_add_co_ci_u32_e64 v6, s0, 0, v6, s0
	global_load_b128 v[140:143], v[5:6], off offset:800
	v_add_f64 v[1:2], v[196:197], -v[1:2]
	v_add_f64 v[3:4], v[198:199], -v[3:4]
	s_waitcnt vmcnt(0) lgkmcnt(12)
	v_mul_f64 v[7:8], v[146:147], v[142:143]
	s_delay_alu instid0(VALU_DEP_1) | instskip(SKIP_1) | instid1(VALU_DEP_2)
	v_fma_f64 v[9:10], v[144:145], v[140:141], -v[7:8]
	v_mul_f64 v[7:8], v[144:145], v[142:143]
	v_add_f64 v[9:10], v[192:193], -v[9:10]
	s_delay_alu instid0(VALU_DEP_2) | instskip(SKIP_3) | instid1(VALU_DEP_1)
	v_fma_f64 v[11:12], v[146:147], v[140:141], v[7:8]
	global_load_b128 v[144:147], v[5:6], off offset:1344
	v_fma_f64 v[13:14], v[192:193], 2.0, -v[9:10]
	v_add_f64 v[11:12], v[194:195], -v[11:12]
	v_fma_f64 v[15:16], v[194:195], 2.0, -v[11:12]
	s_waitcnt vmcnt(0) lgkmcnt(10)
	v_mul_f64 v[7:8], v[150:151], v[146:147]
	s_delay_alu instid0(VALU_DEP_1) | instskip(SKIP_1) | instid1(VALU_DEP_2)
	v_fma_f64 v[17:18], v[148:149], v[144:145], -v[7:8]
	v_mul_f64 v[7:8], v[148:149], v[146:147]
	v_add_f64 v[17:18], v[188:189], -v[17:18]
	s_delay_alu instid0(VALU_DEP_2) | instskip(SKIP_3) | instid1(VALU_DEP_1)
	v_fma_f64 v[19:20], v[150:151], v[144:145], v[7:8]
	global_load_b128 v[148:151], v[5:6], off offset:1888
	v_fma_f64 v[21:22], v[188:189], 2.0, -v[17:18]
	v_add_f64 v[19:20], v[190:191], -v[19:20]
	v_fma_f64 v[23:24], v[190:191], 2.0, -v[19:20]
	;; [unrolled: 12-line block ×4, first 2 shown]
	s_waitcnt vmcnt(0) lgkmcnt(4)
	v_mul_f64 v[7:8], v[162:163], v[158:159]
	s_delay_alu instid0(VALU_DEP_1) | instskip(SKIP_1) | instid1(VALU_DEP_2)
	v_fma_f64 v[41:42], v[160:161], v[156:157], -v[7:8]
	v_mul_f64 v[7:8], v[160:161], v[158:159]
	v_add_f64 v[49:50], v[176:177], -v[41:42]
	s_delay_alu instid0(VALU_DEP_2) | instskip(SKIP_2) | instid1(VALU_DEP_1)
	v_fma_f64 v[45:46], v[162:163], v[156:157], v[7:8]
	global_load_b128 v[160:163], v[5:6], off offset:3520
	v_lshlrev_b64 v[41:42], 4, v[210:211]
	v_add_co_u32 v41, s0, s10, v41
	s_delay_alu instid0(VALU_DEP_1) | instskip(NEXT) | instid1(VALU_DEP_2)
	v_add_co_ci_u32_e64 v42, s0, s11, v42, s0
	v_add_co_u32 v41, s0, 0x1000, v41
	s_delay_alu instid0(VALU_DEP_1) | instskip(SKIP_2) | instid1(VALU_DEP_1)
	v_add_co_ci_u32_e64 v42, s0, 0, v42, s0
	v_fma_f64 v[53:54], v[176:177], 2.0, -v[49:50]
	v_add_f64 v[51:52], v[178:179], -v[45:46]
	v_fma_f64 v[55:56], v[178:179], 2.0, -v[51:52]
	s_waitcnt vmcnt(0) lgkmcnt(2)
	v_mul_f64 v[7:8], v[166:167], v[162:163]
	s_delay_alu instid0(VALU_DEP_1) | instskip(SKIP_1) | instid1(VALU_DEP_2)
	v_fma_f64 v[57:58], v[164:165], v[160:161], -v[7:8]
	v_mul_f64 v[7:8], v[164:165], v[162:163]
	v_add_f64 v[57:58], v[168:169], -v[57:58]
	s_delay_alu instid0(VALU_DEP_2) | instskip(SKIP_4) | instid1(VALU_DEP_1)
	v_fma_f64 v[59:60], v[166:167], v[160:161], v[7:8]
	global_load_b128 v[164:167], v[5:6], off offset:4064
	v_fma_f64 v[7:8], v[198:199], 2.0, -v[3:4]
	v_fma_f64 v[61:62], v[168:169], 2.0, -v[57:58]
	v_add_f64 v[59:60], v[170:171], -v[59:60]
	v_fma_f64 v[63:64], v[170:171], 2.0, -v[59:60]
	s_waitcnt vmcnt(0) lgkmcnt(0)
	v_mul_f64 v[5:6], v[206:207], v[166:167]
	s_delay_alu instid0(VALU_DEP_1) | instskip(SKIP_1) | instid1(VALU_DEP_2)
	v_fma_f64 v[65:66], v[204:205], v[164:165], -v[5:6]
	v_mul_f64 v[5:6], v[204:205], v[166:167]
	v_add_f64 v[168:169], v[136:137], -v[65:66]
	global_load_b128 v[65:68], v[41:42], off offset:256
	v_fma_f64 v[204:205], v[206:207], v[164:165], v[5:6]
	v_fma_f64 v[5:6], v[196:197], 2.0, -v[1:2]
	v_fma_f64 v[136:137], v[136:137], 2.0, -v[168:169]
	s_delay_alu instid0(VALU_DEP_3) | instskip(NEXT) | instid1(VALU_DEP_1)
	v_add_f64 v[170:171], v[138:139], -v[204:205]
	v_fma_f64 v[138:139], v[138:139], 2.0, -v[170:171]
	s_waitcnt vmcnt(0)
	v_mul_f64 v[41:42], v[202:203], v[67:68]
	v_mul_f64 v[45:46], v[200:201], v[67:68]
	scratch_store_b128 off, v[65:68], off offset:428 ; 16-byte Folded Spill
	v_fma_f64 v[41:42], v[200:201], v[65:66], -v[41:42]
	v_fma_f64 v[46:47], v[202:203], v[65:66], v[45:46]
	v_lshl_add_u32 v45, v43, 4, v48
	ds_store_b128 v45, v[1:4] offset:4624
	ds_store_b128 v255, v[5:8]
	ds_store_b128 v255, v[13:16] offset:544
	ds_store_b128 v45, v[9:12] offset:5168
	;; [unrolled: 1-line block ×14, first 2 shown]
	v_add_f64 v[1:2], v[172:173], -v[41:42]
	v_add_f64 v[3:4], v[174:175], -v[46:47]
	scratch_store_b128 off, v[1:4], off offset:4 ; 16-byte Folded Spill
	s_and_saveexec_b32 s0, vcc_lo
	s_cbranch_execz .LBB0_5
; %bb.4:
	scratch_load_b128 v[5:8], off, off offset:4 ; 16-byte Folded Reload
	s_waitcnt vmcnt(0)
	v_fma_f64 v[3:4], v[174:175], 2.0, -v[7:8]
	v_fma_f64 v[1:2], v[172:173], 2.0, -v[5:6]
	ds_store_b128 v255, v[1:4] offset:4352
	ds_store_b128 v45, v[5:8] offset:8976
.LBB0_5:
	s_or_b32 exec_lo, exec_lo, s0
	v_add_co_u32 v0, s0, s8, v0
	s_delay_alu instid0(VALU_DEP_1) | instskip(SKIP_2) | instid1(VALU_DEP_2)
	v_add_co_ci_u32_e64 v1, null, s9, 0, s0
	s_waitcnt lgkmcnt(0)
	s_waitcnt_vscnt null, 0x0
	v_add_co_u32 v2, s0, 0x2000, v0
	s_delay_alu instid0(VALU_DEP_1)
	v_add_co_ci_u32_e64 v3, s0, 0, v1, s0
	s_barrier
	buffer_gl0_inv
	ds_load_b128 v[6:9], v255
	ds_load_b128 v[18:21], v255 offset:5440
	global_load_b128 v[2:5], v[2:3], off offset:1056
	s_mov_b32 s20, 0x2a9d6da3
	s_mov_b32 s16, 0x7c9e640b
	;; [unrolled: 1-line block ×41, first 2 shown]
	ds_load_b128 v[24:27], v255 offset:5984
	ds_load_b128 v[30:33], v255 offset:6528
	;; [unrolled: 1-line block ×5, first 2 shown]
	s_waitcnt vmcnt(0) lgkmcnt(6)
	v_mul_f64 v[10:11], v[8:9], v[4:5]
	v_mul_f64 v[4:5], v[6:7], v[4:5]
	s_delay_alu instid0(VALU_DEP_2) | instskip(SKIP_1) | instid1(VALU_DEP_1)
	v_fma_f64 v[172:173], v[6:7], v[2:3], -v[10:11]
	v_add_co_u32 v10, s0, 0x2420, v0
	v_add_co_ci_u32_e64 v11, s0, 0, v1, s0
	s_delay_alu instid0(VALU_DEP_4)
	v_fma_f64 v[174:175], v[8:9], v[2:3], v[4:5]
	ds_load_b128 v[6:9], v255 offset:544
	v_add_co_u32 v34, s0, 0x3000, v0
	global_load_b128 v[2:5], v[10:11], off offset:544
	v_add_co_ci_u32_e64 v35, s0, 0, v1, s0
	s_waitcnt vmcnt(0) lgkmcnt(0)
	v_mul_f64 v[12:13], v[8:9], v[4:5]
	v_mul_f64 v[4:5], v[6:7], v[4:5]
	s_delay_alu instid0(VALU_DEP_2) | instskip(NEXT) | instid1(VALU_DEP_2)
	v_fma_f64 v[176:177], v[6:7], v[2:3], -v[12:13]
	v_fma_f64 v[178:179], v[8:9], v[2:3], v[4:5]
	global_load_b128 v[2:5], v[10:11], off offset:1088
	ds_load_b128 v[6:9], v255 offset:1088
	s_waitcnt vmcnt(0) lgkmcnt(0)
	v_mul_f64 v[12:13], v[8:9], v[4:5]
	v_mul_f64 v[4:5], v[6:7], v[4:5]
	s_delay_alu instid0(VALU_DEP_2) | instskip(NEXT) | instid1(VALU_DEP_2)
	v_fma_f64 v[180:181], v[6:7], v[2:3], -v[12:13]
	v_fma_f64 v[182:183], v[8:9], v[2:3], v[4:5]
	global_load_b128 v[2:5], v[10:11], off offset:1632
	ds_load_b128 v[6:9], v255 offset:1632
	;; [unrolled: 8-line block ×8, first 2 shown]
	s_waitcnt vmcnt(0) lgkmcnt(0)
	v_mul_f64 v[2:3], v[14:15], v[10:11]
	v_mul_f64 v[16:17], v[12:13], v[10:11]
	s_delay_alu instid0(VALU_DEP_2) | instskip(NEXT) | instid1(VALU_DEP_2)
	v_fma_f64 v[10:11], v[12:13], v[8:9], -v[2:3]
	v_fma_f64 v[12:13], v[14:15], v[8:9], v[16:17]
	global_load_b128 v[14:17], v[34:35], off offset:2400
	s_waitcnt vmcnt(0)
	v_mul_f64 v[2:3], v[20:21], v[16:17]
	v_mul_f64 v[8:9], v[18:19], v[16:17]
	s_delay_alu instid0(VALU_DEP_2) | instskip(NEXT) | instid1(VALU_DEP_2)
	v_fma_f64 v[16:17], v[18:19], v[14:15], -v[2:3]
	v_fma_f64 v[18:19], v[20:21], v[14:15], v[8:9]
	global_load_b128 v[20:23], v[34:35], off offset:2944
	s_waitcnt vmcnt(0)
	;; [unrolled: 7-line block ×4, first 2 shown]
	v_mul_f64 v[2:3], v[38:39], v[34:35]
	v_mul_f64 v[8:9], v[36:37], v[34:35]
	s_delay_alu instid0(VALU_DEP_2) | instskip(NEXT) | instid1(VALU_DEP_2)
	v_fma_f64 v[34:35], v[36:37], v[32:33], -v[2:3]
	v_fma_f64 v[36:37], v[38:39], v[32:33], v[8:9]
	v_add_co_u32 v8, s0, 0x4000, v0
	s_delay_alu instid0(VALU_DEP_1)
	v_add_co_ci_u32_e64 v9, s0, 0, v1, s0
	ds_load_b128 v[38:41], v255 offset:7616
	s_mov_b32 s0, 0xacd6c6b4
	s_mov_b32 s1, 0xbfc7851a
	global_load_b128 v[0:3], v[8:9], off offset:480
	s_mov_b32 s54, s0
	s_waitcnt vmcnt(0) lgkmcnt(0)
	v_mul_f64 v[14:15], v[40:41], v[2:3]
	v_mul_f64 v[2:3], v[38:39], v[2:3]
	s_delay_alu instid0(VALU_DEP_2) | instskip(NEXT) | instid1(VALU_DEP_2)
	v_fma_f64 v[38:39], v[38:39], v[0:1], -v[14:15]
	v_fma_f64 v[40:41], v[40:41], v[0:1], v[2:3]
	global_load_b128 v[0:3], v[8:9], off offset:1024
	s_waitcnt vmcnt(0)
	v_mul_f64 v[14:15], v[48:49], v[2:3]
	v_mul_f64 v[2:3], v[46:47], v[2:3]
	s_delay_alu instid0(VALU_DEP_2) | instskip(NEXT) | instid1(VALU_DEP_2)
	v_fma_f64 v[46:47], v[46:47], v[0:1], -v[14:15]
	v_fma_f64 v[48:49], v[48:49], v[0:1], v[2:3]
	global_load_b128 v[0:3], v[8:9], off offset:1568
	s_waitcnt vmcnt(0)
	v_mul_f64 v[8:9], v[52:53], v[2:3]
	v_mul_f64 v[2:3], v[50:51], v[2:3]
	s_delay_alu instid0(VALU_DEP_2) | instskip(NEXT) | instid1(VALU_DEP_2)
	v_fma_f64 v[50:51], v[50:51], v[0:1], -v[8:9]
	v_fma_f64 v[52:53], v[52:53], v[0:1], v[2:3]
	ds_store_b128 v255, v[172:175]
	ds_store_b128 v255, v[176:179] offset:544
	ds_store_b128 v255, v[180:183] offset:1088
	;; [unrolled: 1-line block ×16, first 2 shown]
	s_waitcnt lgkmcnt(0)
	s_barrier
	buffer_gl0_inv
	ds_load_b128 v[172:175], v255
	ds_load_b128 v[176:179], v255 offset:544
	ds_load_b128 v[180:183], v255 offset:1088
	;; [unrolled: 1-line block ×10, first 2 shown]
	s_waitcnt lgkmcnt(9)
	v_add_f64 v[0:1], v[172:173], v[176:177]
	v_add_f64 v[2:3], v[174:175], v[178:179]
	s_waitcnt lgkmcnt(1)
	v_add_f64 v[233:234], v[206:207], v[210:211]
	s_waitcnt lgkmcnt(0)
	v_add_f64 v[253:254], v[202:203], v[10:11]
	v_add_f64 v[20:21], v[202:203], -v[10:11]
	v_add_f64 v[249:250], v[206:207], -v[210:211]
	v_add_f64 v[0:1], v[0:1], v[180:181]
	v_add_f64 v[2:3], v[2:3], v[182:183]
	v_mul_f64 v[251:252], v[253:254], s[22:23]
	v_mul_f64 v[84:85], v[253:254], s[30:31]
	s_delay_alu instid0(VALU_DEP_4) | instskip(NEXT) | instid1(VALU_DEP_4)
	v_add_f64 v[0:1], v[0:1], v[184:185]
	v_add_f64 v[2:3], v[2:3], v[186:187]
	s_delay_alu instid0(VALU_DEP_2) | instskip(NEXT) | instid1(VALU_DEP_2)
	v_add_f64 v[0:1], v[0:1], v[188:189]
	v_add_f64 v[2:3], v[2:3], v[190:191]
	s_delay_alu instid0(VALU_DEP_2) | instskip(NEXT) | instid1(VALU_DEP_2)
	;; [unrolled: 3-line block ×5, first 2 shown]
	v_add_f64 v[4:5], v[0:1], v[204:205]
	v_add_f64 v[6:7], v[2:3], v[206:207]
	;; [unrolled: 1-line block ×3, first 2 shown]
	v_add_f64 v[2:3], v[204:205], -v[208:209]
	s_delay_alu instid0(VALU_DEP_4) | instskip(NEXT) | instid1(VALU_DEP_4)
	v_add_f64 v[12:13], v[4:5], v[208:209]
	v_add_f64 v[14:15], v[6:7], v[210:211]
	v_add_f64 v[4:5], v[200:201], v[8:9]
	v_add_f64 v[6:7], v[200:201], -v[8:9]
	s_delay_alu instid0(VALU_DEP_4) | instskip(NEXT) | instid1(VALU_DEP_4)
	v_add_f64 v[12:13], v[12:13], v[8:9]
	v_add_f64 v[14:15], v[14:15], v[10:11]
	ds_load_b128 v[8:11], v255 offset:5984
	v_fma_f64 v[86:87], v[6:7], s[16:17], v[84:85]
	s_waitcnt lgkmcnt(0)
	v_add_f64 v[213:214], v[196:197], v[8:9]
	v_add_f64 v[22:23], v[198:199], v[10:11]
	v_add_f64 v[215:216], v[196:197], -v[8:9]
	v_add_f64 v[24:25], v[198:199], -v[10:11]
	v_add_f64 v[12:13], v[12:13], v[8:9]
	v_add_f64 v[14:15], v[14:15], v[10:11]
	ds_load_b128 v[8:11], v255 offset:6528
	s_waitcnt lgkmcnt(0)
	v_add_f64 v[217:218], v[192:193], v[8:9]
	v_add_f64 v[26:27], v[194:195], v[10:11]
	v_add_f64 v[219:220], v[192:193], -v[8:9]
	v_add_f64 v[28:29], v[194:195], -v[10:11]
	v_mul_f64 v[247:248], v[24:25], s[8:9]
	v_mul_f64 v[80:81], v[22:23], s[26:27]
	v_add_f64 v[12:13], v[12:13], v[8:9]
	v_add_f64 v[14:15], v[14:15], v[10:11]
	ds_load_b128 v[8:11], v255 offset:7072
	s_waitcnt lgkmcnt(0)
	v_add_f64 v[221:222], v[188:189], v[8:9]
	v_add_f64 v[30:31], v[190:191], v[10:11]
	v_add_f64 v[223:224], v[188:189], -v[8:9]
	v_add_f64 v[32:33], v[190:191], -v[10:11]
	v_mul_f64 v[76:77], v[26:27], s[22:23]
	v_fma_f64 v[82:83], v[215:216], s[10:11], v[80:81]
	v_add_f64 v[12:13], v[12:13], v[8:9]
	v_add_f64 v[14:15], v[14:15], v[10:11]
	ds_load_b128 v[8:11], v255 offset:7616
	s_waitcnt lgkmcnt(0)
	v_add_f64 v[225:226], v[184:185], v[8:9]
	v_add_f64 v[34:35], v[186:187], v[10:11]
	v_add_f64 v[227:228], v[184:185], -v[8:9]
	v_add_f64 v[36:37], v[186:187], -v[10:11]
	v_mul_f64 v[72:73], v[30:31], s[18:19]
	v_fma_f64 v[78:79], v[219:220], s[2:3], v[76:77]
	v_add_f64 v[12:13], v[12:13], v[8:9]
	v_add_f64 v[14:15], v[14:15], v[10:11]
	ds_load_b128 v[8:11], v255 offset:8160
	s_waitcnt lgkmcnt(0)
	v_add_f64 v[229:230], v[180:181], v[8:9]
	v_add_f64 v[38:39], v[182:183], v[10:11]
	v_add_f64 v[231:232], v[180:181], -v[8:9]
	v_add_f64 v[40:41], v[182:183], -v[10:11]
	v_mul_f64 v[68:69], v[34:35], s[24:25]
	v_mul_f64 v[168:169], v[36:37], s[8:9]
	v_fma_f64 v[74:75], v[223:224], s[54:55], v[72:73]
	v_add_f64 v[12:13], v[12:13], v[8:9]
	v_add_f64 v[14:15], v[14:15], v[10:11]
	ds_load_b128 v[8:11], v255 offset:8704
	s_waitcnt lgkmcnt(0)
	v_add_f64 v[16:17], v[178:179], -v[10:11]
	v_add_f64 v[18:19], v[176:177], v[8:9]
	v_add_f64 v[42:43], v[178:179], v[10:11]
	v_add_f64 v[46:47], v[176:177], -v[8:9]
	v_fma_f64 v[70:71], v[227:228], s[50:51], v[68:69]
	v_fma_f64 v[170:171], v[225:226], s[24:25], v[168:169]
	v_fma_f64 v[168:169], v[225:226], s[24:25], -v[168:169]
	v_fma_f64 v[68:69], v[227:228], s[8:9], v[68:69]
	v_add_f64 v[176:177], v[12:13], v[8:9]
	v_add_f64 v[178:179], v[14:15], v[10:11]
	v_mul_f64 v[8:9], v[16:17], s[46:47]
	v_mul_f64 v[10:11], v[16:17], s[20:21]
	;; [unrolled: 1-line block ×14, first 2 shown]
	v_fma_f64 v[54:55], v[18:19], s[36:37], v[8:9]
	v_fma_f64 v[8:9], v[18:19], s[36:37], -v[8:9]
	v_fma_f64 v[56:57], v[18:19], s[34:35], v[10:11]
	v_fma_f64 v[10:11], v[18:19], s[34:35], -v[10:11]
	;; [unrolled: 2-line block ×8, first 2 shown]
	v_mul_f64 v[18:19], v[42:43], s[36:37]
	v_mul_f64 v[42:43], v[42:43], s[18:19]
	v_fma_f64 v[235:236], v[46:47], s[50:51], v[186:187]
	v_fma_f64 v[237:238], v[46:47], s[8:9], v[186:187]
	;; [unrolled: 1-line block ×12, first 2 shown]
	v_add_f64 v[132:133], v[172:173], v[8:9]
	v_add_f64 v[186:187], v[172:173], v[56:57]
	;; [unrolled: 1-line block ×10, first 2 shown]
	v_fma_f64 v[190:191], v[46:47], s[42:43], v[18:19]
	v_fma_f64 v[243:244], v[46:47], s[54:55], v[42:43]
	v_fma_f64 v[42:43], v[46:47], s[0:1], v[42:43]
	v_add_f64 v[62:63], v[174:175], v[235:236]
	v_mul_f64 v[235:236], v[40:41], s[20:21]
	v_fma_f64 v[18:19], v[46:47], s[46:47], v[18:19]
	v_add_f64 v[46:47], v[172:173], v[54:55]
	v_add_f64 v[58:59], v[174:175], v[237:238]
	;; [unrolled: 1-line block ×3, first 2 shown]
	v_mul_f64 v[237:238], v[38:39], s[34:35]
	v_mul_f64 v[239:240], v[36:37], s[16:17]
	v_add_f64 v[188:189], v[174:175], v[198:199]
	v_add_f64 v[198:199], v[172:173], v[14:15]
	;; [unrolled: 1-line block ×3, first 2 shown]
	v_mul_f64 v[241:242], v[34:35], s[30:31]
	v_add_f64 v[184:185], v[174:175], v[192:193]
	v_add_f64 v[192:193], v[174:175], v[196:197]
	;; [unrolled: 1-line block ×14, first 2 shown]
	v_mul_f64 v[243:244], v[32:33], s[14:15]
	v_add_f64 v[134:135], v[174:175], v[18:19]
	v_fma_f64 v[12:13], v[231:232], s[44:45], v[237:238]
	v_fma_f64 v[14:15], v[225:226], s[30:31], v[239:240]
	scratch_store_b64 off, v[8:9], off offset:396 ; 8-byte Folded Spill
	v_fma_f64 v[8:9], v[229:230], s[34:35], v[235:236]
	v_add_f64 v[12:13], v[12:13], v[245:246]
	v_mul_f64 v[245:246], v[26:27], s[26:27]
	s_delay_alu instid0(VALU_DEP_3) | instskip(NEXT) | instid1(VALU_DEP_1)
	v_add_f64 v[8:9], v[8:9], v[46:47]
	v_add_f64 v[8:9], v[14:15], v[8:9]
	v_fma_f64 v[14:15], v[227:228], s[40:41], v[241:242]
	s_delay_alu instid0(VALU_DEP_1) | instskip(SKIP_1) | instid1(VALU_DEP_1)
	v_add_f64 v[14:15], v[14:15], v[12:13]
	v_fma_f64 v[12:13], v[221:222], s[28:29], v[243:244]
	v_add_f64 v[8:9], v[12:13], v[8:9]
	v_mul_f64 v[12:13], v[30:31], s[28:29]
	s_delay_alu instid0(VALU_DEP_1) | instskip(SKIP_1) | instid1(VALU_DEP_2)
	v_fma_f64 v[16:17], v[223:224], s[38:39], v[12:13]
	v_fma_f64 v[12:13], v[223:224], s[14:15], v[12:13]
	v_add_f64 v[16:17], v[16:17], v[14:15]
	v_mul_f64 v[14:15], v[28:29], s[10:11]
	s_delay_alu instid0(VALU_DEP_1) | instskip(SKIP_1) | instid1(VALU_DEP_2)
	v_fma_f64 v[18:19], v[217:218], s[26:27], v[14:15]
	v_fma_f64 v[14:15], v[217:218], s[26:27], -v[14:15]
	v_add_f64 v[8:9], v[18:19], v[8:9]
	v_fma_f64 v[18:19], v[219:220], s[48:49], v[245:246]
	s_delay_alu instid0(VALU_DEP_1) | instskip(SKIP_1) | instid1(VALU_DEP_1)
	v_add_f64 v[18:19], v[18:19], v[16:17]
	v_fma_f64 v[16:17], v[213:214], s[24:25], v[247:248]
	v_add_f64 v[8:9], v[16:17], v[8:9]
	v_mul_f64 v[16:17], v[22:23], s[24:25]
	s_delay_alu instid0(VALU_DEP_1) | instskip(SKIP_1) | instid1(VALU_DEP_2)
	v_fma_f64 v[46:47], v[215:216], s[50:51], v[16:17]
	v_fma_f64 v[16:17], v[215:216], s[8:9], v[16:17]
	v_add_f64 v[46:47], v[46:47], v[18:19]
	v_mul_f64 v[18:19], v[20:21], s[2:3]
	s_delay_alu instid0(VALU_DEP_1) | instskip(NEXT) | instid1(VALU_DEP_1)
	v_fma_f64 v[136:137], v[4:5], s[22:23], v[18:19]
	v_add_f64 v[136:137], v[136:137], v[8:9]
	v_fma_f64 v[8:9], v[6:7], s[52:53], v[251:252]
	s_delay_alu instid0(VALU_DEP_1) | instskip(SKIP_1) | instid1(VALU_DEP_1)
	v_add_f64 v[46:47], v[8:9], v[46:47]
	v_mul_f64 v[8:9], v[249:250], s[0:1]
	v_fma_f64 v[172:173], v[0:1], s[18:19], v[8:9]
	s_delay_alu instid0(VALU_DEP_1) | instskip(SKIP_1) | instid1(VALU_DEP_1)
	v_add_f64 v[172:173], v[172:173], v[136:137]
	v_mul_f64 v[136:137], v[233:234], s[18:19]
	;; [unrolled: 4-line block ×3, first 2 shown]
	v_fma_f64 v[210:211], v[229:230], s[28:29], v[46:47]
	s_delay_alu instid0(VALU_DEP_1) | instskip(SKIP_1) | instid1(VALU_DEP_2)
	v_add_f64 v[186:187], v[210:211], v[186:187]
	v_mul_f64 v[210:211], v[38:39], s[28:29]
	v_add_f64 v[170:171], v[170:171], v[186:187]
	s_delay_alu instid0(VALU_DEP_2) | instskip(NEXT) | instid1(VALU_DEP_1)
	v_fma_f64 v[42:43], v[231:232], s[38:39], v[210:211]
	v_add_f64 v[42:43], v[42:43], v[184:185]
	s_delay_alu instid0(VALU_DEP_1) | instskip(SKIP_1) | instid1(VALU_DEP_2)
	v_add_f64 v[42:43], v[70:71], v[42:43]
	v_mul_f64 v[70:71], v[32:33], s[0:1]
	v_add_f64 v[42:43], v[74:75], v[42:43]
	s_delay_alu instid0(VALU_DEP_2) | instskip(SKIP_1) | instid1(VALU_DEP_3)
	v_fma_f64 v[184:185], v[221:222], s[18:19], v[70:71]
	v_mul_f64 v[74:75], v[28:29], s[52:53]
	v_add_f64 v[42:43], v[78:79], v[42:43]
	s_delay_alu instid0(VALU_DEP_3) | instskip(NEXT) | instid1(VALU_DEP_3)
	v_add_f64 v[170:171], v[184:185], v[170:171]
	v_fma_f64 v[184:185], v[217:218], s[22:23], v[74:75]
	v_mul_f64 v[78:79], v[24:25], s[48:49]
	s_delay_alu instid0(VALU_DEP_4) | instskip(SKIP_1) | instid1(VALU_DEP_4)
	v_add_f64 v[42:43], v[82:83], v[42:43]
	v_mul_f64 v[82:83], v[20:21], s[40:41]
	v_add_f64 v[170:171], v[184:185], v[170:171]
	s_delay_alu instid0(VALU_DEP_4) | instskip(NEXT) | instid1(VALU_DEP_4)
	v_fma_f64 v[184:185], v[213:214], s[26:27], v[78:79]
	v_add_f64 v[42:43], v[86:87], v[42:43]
	v_mul_f64 v[86:87], v[249:250], s[42:43]
	s_delay_alu instid0(VALU_DEP_3) | instskip(SKIP_1) | instid1(VALU_DEP_1)
	v_add_f64 v[170:171], v[184:185], v[170:171]
	v_fma_f64 v[184:185], v[4:5], s[30:31], v[82:83]
	v_add_f64 v[170:171], v[184:185], v[170:171]
	s_delay_alu instid0(VALU_DEP_4) | instskip(NEXT) | instid1(VALU_DEP_1)
	v_fma_f64 v[184:185], v[0:1], s[36:37], v[86:87]
	v_add_f64 v[184:185], v[184:185], v[170:171]
	v_mul_f64 v[170:171], v[233:234], s[36:37]
	s_delay_alu instid0(VALU_DEP_1) | instskip(NEXT) | instid1(VALU_DEP_1)
	v_fma_f64 v[186:187], v[2:3], s[46:47], v[170:171]
	v_add_f64 v[186:187], v[186:187], v[42:43]
	v_fma_f64 v[42:43], v[229:230], s[28:29], -v[46:47]
	v_fma_f64 v[46:47], v[231:232], s[14:15], v[210:211]
	v_mul_f64 v[210:211], v[249:250], s[2:3]
	s_delay_alu instid0(VALU_DEP_3) | instskip(NEXT) | instid1(VALU_DEP_3)
	v_add_f64 v[42:43], v[42:43], v[182:183]
	v_add_f64 v[46:47], v[46:47], v[180:181]
	s_delay_alu instid0(VALU_DEP_2) | instskip(NEXT) | instid1(VALU_DEP_2)
	v_add_f64 v[42:43], v[168:169], v[42:43]
	v_add_f64 v[46:47], v[68:69], v[46:47]
	v_fma_f64 v[68:69], v[221:222], s[18:19], -v[70:71]
	v_fma_f64 v[70:71], v[2:3], s[42:43], v[170:171]
	s_delay_alu instid0(VALU_DEP_2) | instskip(SKIP_2) | instid1(VALU_DEP_2)
	v_add_f64 v[42:43], v[68:69], v[42:43]
	v_fma_f64 v[68:69], v[223:224], s[0:1], v[72:73]
	v_mul_f64 v[72:73], v[36:37], s[54:55]
	v_add_f64 v[46:47], v[68:69], v[46:47]
	v_fma_f64 v[68:69], v[217:218], s[22:23], -v[74:75]
	s_delay_alu instid0(VALU_DEP_3) | instskip(NEXT) | instid1(VALU_DEP_2)
	v_fma_f64 v[74:75], v[225:226], s[18:19], v[72:73]
	v_add_f64 v[42:43], v[68:69], v[42:43]
	v_fma_f64 v[68:69], v[219:220], s[52:53], v[76:77]
	s_delay_alu instid0(VALU_DEP_1) | instskip(SKIP_1) | instid1(VALU_DEP_1)
	v_add_f64 v[46:47], v[68:69], v[46:47]
	v_fma_f64 v[68:69], v[213:214], s[26:27], -v[78:79]
	v_add_f64 v[42:43], v[68:69], v[42:43]
	v_fma_f64 v[68:69], v[215:216], s[48:49], v[80:81]
	s_delay_alu instid0(VALU_DEP_1) | instskip(SKIP_1) | instid1(VALU_DEP_1)
	v_add_f64 v[46:47], v[68:69], v[46:47]
	v_fma_f64 v[68:69], v[4:5], s[30:31], -v[82:83]
	v_add_f64 v[42:43], v[68:69], v[42:43]
	v_fma_f64 v[68:69], v[6:7], s[40:41], v[84:85]
	s_delay_alu instid0(VALU_DEP_1) | instskip(SKIP_1) | instid1(VALU_DEP_2)
	v_add_f64 v[46:47], v[68:69], v[46:47]
	v_fma_f64 v[68:69], v[0:1], s[36:37], -v[86:87]
	v_add_f64 v[182:183], v[70:71], v[46:47]
	s_delay_alu instid0(VALU_DEP_2) | instskip(SKIP_2) | instid1(VALU_DEP_2)
	v_add_f64 v[180:181], v[68:69], v[42:43]
	v_mul_f64 v[42:43], v[40:41], s[8:9]
	v_mul_f64 v[68:69], v[38:39], s[24:25]
	v_fma_f64 v[46:47], v[229:230], s[24:25], v[42:43]
	s_delay_alu instid0(VALU_DEP_2) | instskip(SKIP_2) | instid1(VALU_DEP_4)
	v_fma_f64 v[70:71], v[231:232], s[50:51], v[68:69]
	v_fma_f64 v[42:43], v[229:230], s[24:25], -v[42:43]
	v_fma_f64 v[68:69], v[231:232], s[8:9], v[68:69]
	v_add_f64 v[46:47], v[46:47], v[194:195]
	s_delay_alu instid0(VALU_DEP_4) | instskip(NEXT) | instid1(VALU_DEP_4)
	v_add_f64 v[70:71], v[70:71], v[192:193]
	v_add_f64 v[42:43], v[42:43], v[190:191]
	s_delay_alu instid0(VALU_DEP_4) | instskip(NEXT) | instid1(VALU_DEP_4)
	v_add_f64 v[68:69], v[68:69], v[188:189]
	v_add_f64 v[46:47], v[74:75], v[46:47]
	v_mul_f64 v[74:75], v[34:35], s[18:19]
	s_delay_alu instid0(VALU_DEP_1) | instskip(NEXT) | instid1(VALU_DEP_1)
	v_fma_f64 v[76:77], v[227:228], s[0:1], v[74:75]
	v_add_f64 v[70:71], v[76:77], v[70:71]
	v_mul_f64 v[76:77], v[32:33], s[48:49]
	s_delay_alu instid0(VALU_DEP_1) | instskip(NEXT) | instid1(VALU_DEP_1)
	v_fma_f64 v[78:79], v[221:222], s[26:27], v[76:77]
	;; [unrolled: 4-line block ×9, first 2 shown]
	v_add_f64 v[70:71], v[192:193], v[70:71]
	v_fma_f64 v[192:193], v[0:1], s[22:23], v[210:211]
	s_delay_alu instid0(VALU_DEP_1) | instskip(SKIP_1) | instid1(VALU_DEP_1)
	v_add_f64 v[192:193], v[192:193], v[46:47]
	v_mul_f64 v[46:47], v[233:234], s[22:23]
	v_fma_f64 v[194:195], v[2:3], s[52:53], v[46:47]
	v_fma_f64 v[46:47], v[2:3], s[2:3], v[46:47]
	s_delay_alu instid0(VALU_DEP_2) | instskip(SKIP_2) | instid1(VALU_DEP_2)
	v_add_f64 v[194:195], v[194:195], v[70:71]
	v_fma_f64 v[70:71], v[225:226], s[18:19], -v[72:73]
	v_mul_f64 v[72:73], v[36:37], s[48:49]
	v_add_f64 v[42:43], v[70:71], v[42:43]
	v_fma_f64 v[70:71], v[227:228], s[54:55], v[74:75]
	s_delay_alu instid0(VALU_DEP_3) | instskip(NEXT) | instid1(VALU_DEP_2)
	v_fma_f64 v[74:75], v[225:226], s[26:27], v[72:73]
	v_add_f64 v[68:69], v[70:71], v[68:69]
	v_fma_f64 v[70:71], v[221:222], s[26:27], -v[76:77]
	s_delay_alu instid0(VALU_DEP_1) | instskip(SKIP_1) | instid1(VALU_DEP_1)
	v_add_f64 v[42:43], v[70:71], v[42:43]
	v_fma_f64 v[70:71], v[223:224], s[48:49], v[78:79]
	v_add_f64 v[68:69], v[70:71], v[68:69]
	v_fma_f64 v[70:71], v[217:218], s[34:35], -v[80:81]
	s_delay_alu instid0(VALU_DEP_1) | instskip(SKIP_1) | instid1(VALU_DEP_1)
	v_add_f64 v[42:43], v[70:71], v[42:43]
	v_fma_f64 v[70:71], v[219:220], s[44:45], v[82:83]
	v_add_f64 v[68:69], v[70:71], v[68:69]
	v_fma_f64 v[70:71], v[213:214], s[36:37], -v[84:85]
	s_delay_alu instid0(VALU_DEP_1) | instskip(SKIP_1) | instid1(VALU_DEP_1)
	v_add_f64 v[42:43], v[70:71], v[42:43]
	v_fma_f64 v[70:71], v[215:216], s[46:47], v[86:87]
	v_add_f64 v[68:69], v[70:71], v[68:69]
	v_fma_f64 v[70:71], v[4:5], s[28:29], -v[168:169]
	s_delay_alu instid0(VALU_DEP_1) | instskip(SKIP_1) | instid1(VALU_DEP_1)
	v_add_f64 v[42:43], v[70:71], v[42:43]
	v_fma_f64 v[70:71], v[6:7], s[14:15], v[170:171]
	v_add_f64 v[68:69], v[70:71], v[68:69]
	v_fma_f64 v[70:71], v[0:1], s[22:23], -v[210:211]
	v_mul_f64 v[210:211], v[249:250], s[44:45]
	s_delay_alu instid0(VALU_DEP_3) | instskip(NEXT) | instid1(VALU_DEP_3)
	v_add_f64 v[190:191], v[46:47], v[68:69]
	v_add_f64 v[188:189], v[70:71], v[42:43]
	v_mul_f64 v[42:43], v[40:41], s[0:1]
	v_mul_f64 v[68:69], v[38:39], s[18:19]
	s_delay_alu instid0(VALU_DEP_2) | instskip(NEXT) | instid1(VALU_DEP_2)
	v_fma_f64 v[46:47], v[229:230], s[18:19], v[42:43]
	v_fma_f64 v[70:71], v[231:232], s[54:55], v[68:69]
	v_fma_f64 v[42:43], v[229:230], s[18:19], -v[42:43]
	v_fma_f64 v[68:69], v[231:232], s[0:1], v[68:69]
	s_delay_alu instid0(VALU_DEP_4) | instskip(NEXT) | instid1(VALU_DEP_4)
	v_add_f64 v[46:47], v[46:47], v[202:203]
	v_add_f64 v[70:71], v[70:71], v[200:201]
	s_delay_alu instid0(VALU_DEP_4) | instskip(NEXT) | instid1(VALU_DEP_4)
	v_add_f64 v[42:43], v[42:43], v[198:199]
	v_add_f64 v[68:69], v[68:69], v[196:197]
	s_delay_alu instid0(VALU_DEP_4) | instskip(SKIP_1) | instid1(VALU_DEP_1)
	v_add_f64 v[46:47], v[74:75], v[46:47]
	v_mul_f64 v[74:75], v[34:35], s[26:27]
	v_fma_f64 v[76:77], v[227:228], s[10:11], v[74:75]
	s_delay_alu instid0(VALU_DEP_1) | instskip(SKIP_1) | instid1(VALU_DEP_1)
	v_add_f64 v[70:71], v[76:77], v[70:71]
	v_mul_f64 v[76:77], v[32:33], s[42:43]
	v_fma_f64 v[78:79], v[221:222], s[36:37], v[76:77]
	s_delay_alu instid0(VALU_DEP_1) | instskip(SKIP_1) | instid1(VALU_DEP_1)
	;; [unrolled: 4-line block ×9, first 2 shown]
	v_add_f64 v[70:71], v[200:201], v[70:71]
	v_fma_f64 v[200:201], v[0:1], s[34:35], v[210:211]
	v_add_f64 v[200:201], v[200:201], v[46:47]
	v_mul_f64 v[46:47], v[233:234], s[34:35]
	s_delay_alu instid0(VALU_DEP_1) | instskip(SKIP_1) | instid1(VALU_DEP_2)
	v_fma_f64 v[202:203], v[2:3], s[20:21], v[46:47]
	v_fma_f64 v[46:47], v[2:3], s[44:45], v[46:47]
	v_add_f64 v[202:203], v[202:203], v[70:71]
	v_fma_f64 v[70:71], v[225:226], s[26:27], -v[72:73]
	v_mul_f64 v[72:73], v[36:37], s[44:45]
	s_delay_alu instid0(VALU_DEP_2) | instskip(SKIP_1) | instid1(VALU_DEP_3)
	v_add_f64 v[42:43], v[70:71], v[42:43]
	v_fma_f64 v[70:71], v[227:228], s[48:49], v[74:75]
	v_fma_f64 v[74:75], v[225:226], s[34:35], v[72:73]
	s_delay_alu instid0(VALU_DEP_2) | instskip(SKIP_1) | instid1(VALU_DEP_1)
	v_add_f64 v[68:69], v[70:71], v[68:69]
	v_fma_f64 v[70:71], v[221:222], s[36:37], -v[76:77]
	v_add_f64 v[42:43], v[70:71], v[42:43]
	v_fma_f64 v[70:71], v[223:224], s[42:43], v[78:79]
	s_delay_alu instid0(VALU_DEP_1) | instskip(SKIP_1) | instid1(VALU_DEP_1)
	v_add_f64 v[68:69], v[70:71], v[68:69]
	v_fma_f64 v[70:71], v[217:218], s[30:31], -v[80:81]
	v_add_f64 v[42:43], v[70:71], v[42:43]
	v_fma_f64 v[70:71], v[219:220], s[16:17], v[82:83]
	s_delay_alu instid0(VALU_DEP_1) | instskip(SKIP_1) | instid1(VALU_DEP_1)
	;; [unrolled: 5-line block ×3, first 2 shown]
	v_add_f64 v[68:69], v[70:71], v[68:69]
	v_fma_f64 v[70:71], v[4:5], s[24:25], -v[168:169]
	v_add_f64 v[42:43], v[70:71], v[42:43]
	v_fma_f64 v[70:71], v[6:7], s[50:51], v[170:171]
	s_delay_alu instid0(VALU_DEP_1) | instskip(SKIP_1) | instid1(VALU_DEP_2)
	v_add_f64 v[68:69], v[70:71], v[68:69]
	v_fma_f64 v[70:71], v[0:1], s[34:35], -v[210:211]
	v_add_f64 v[198:199], v[46:47], v[68:69]
	s_delay_alu instid0(VALU_DEP_2) | instskip(SKIP_2) | instid1(VALU_DEP_2)
	v_add_f64 v[196:197], v[70:71], v[42:43]
	v_mul_f64 v[42:43], v[40:41], s[52:53]
	v_mul_f64 v[68:69], v[38:39], s[22:23]
	v_fma_f64 v[46:47], v[229:230], s[22:23], v[42:43]
	s_delay_alu instid0(VALU_DEP_2) | instskip(SKIP_2) | instid1(VALU_DEP_4)
	v_fma_f64 v[70:71], v[231:232], s[2:3], v[68:69]
	v_fma_f64 v[42:43], v[229:230], s[22:23], -v[42:43]
	v_fma_f64 v[68:69], v[231:232], s[52:53], v[68:69]
	v_add_f64 v[46:47], v[46:47], v[208:209]
	s_delay_alu instid0(VALU_DEP_4) | instskip(NEXT) | instid1(VALU_DEP_4)
	v_add_f64 v[70:71], v[70:71], v[206:207]
	v_add_f64 v[42:43], v[42:43], v[204:205]
	s_delay_alu instid0(VALU_DEP_4) | instskip(SKIP_4) | instid1(VALU_DEP_4)
	v_add_f64 v[66:67], v[68:69], v[66:67]
	v_fma_f64 v[68:69], v[225:226], s[34:35], -v[72:73]
	v_mul_f64 v[72:73], v[32:33], s[2:3]
	v_add_f64 v[46:47], v[74:75], v[46:47]
	v_mul_f64 v[74:75], v[34:35], s[34:35]
	v_add_f64 v[42:43], v[68:69], v[42:43]
	s_delay_alu instid0(VALU_DEP_2) | instskip(SKIP_2) | instid1(VALU_DEP_3)
	v_fma_f64 v[76:77], v[227:228], s[20:21], v[74:75]
	v_fma_f64 v[68:69], v[227:228], s[44:45], v[74:75]
	v_mul_f64 v[74:75], v[30:31], s[22:23]
	v_add_f64 v[70:71], v[76:77], v[70:71]
	v_mul_f64 v[76:77], v[32:33], s[16:17]
	s_delay_alu instid0(VALU_DEP_4) | instskip(NEXT) | instid1(VALU_DEP_2)
	v_add_f64 v[66:67], v[68:69], v[66:67]
	v_fma_f64 v[78:79], v[221:222], s[30:31], v[76:77]
	v_fma_f64 v[68:69], v[221:222], s[30:31], -v[76:77]
	v_mul_f64 v[76:77], v[28:29], s[38:39]
	s_delay_alu instid0(VALU_DEP_3) | instskip(SKIP_1) | instid1(VALU_DEP_4)
	v_add_f64 v[46:47], v[78:79], v[46:47]
	v_mul_f64 v[78:79], v[30:31], s[30:31]
	v_add_f64 v[42:43], v[68:69], v[42:43]
	s_delay_alu instid0(VALU_DEP_2) | instskip(SKIP_2) | instid1(VALU_DEP_3)
	v_fma_f64 v[80:81], v[223:224], s[40:41], v[78:79]
	v_fma_f64 v[68:69], v[223:224], s[16:17], v[78:79]
	v_mul_f64 v[78:79], v[26:27], s[28:29]
	v_add_f64 v[70:71], v[80:81], v[70:71]
	v_mul_f64 v[80:81], v[28:29], s[0:1]
	s_delay_alu instid0(VALU_DEP_4) | instskip(NEXT) | instid1(VALU_DEP_2)
	v_add_f64 v[66:67], v[68:69], v[66:67]
	v_fma_f64 v[82:83], v[217:218], s[18:19], v[80:81]
	v_fma_f64 v[68:69], v[217:218], s[18:19], -v[80:81]
	v_mul_f64 v[80:81], v[24:25], s[20:21]
	s_delay_alu instid0(VALU_DEP_3) | instskip(SKIP_1) | instid1(VALU_DEP_4)
	v_add_f64 v[46:47], v[82:83], v[46:47]
	v_mul_f64 v[82:83], v[26:27], s[18:19]
	v_add_f64 v[42:43], v[68:69], v[42:43]
	s_delay_alu instid0(VALU_DEP_2) | instskip(SKIP_2) | instid1(VALU_DEP_3)
	v_fma_f64 v[84:85], v[219:220], s[54:55], v[82:83]
	v_fma_f64 v[68:69], v[219:220], s[0:1], v[82:83]
	v_mul_f64 v[82:83], v[22:23], s[34:35]
	v_add_f64 v[70:71], v[84:85], v[70:71]
	v_mul_f64 v[84:85], v[24:25], s[38:39]
	s_delay_alu instid0(VALU_DEP_4) | instskip(NEXT) | instid1(VALU_DEP_2)
	v_add_f64 v[66:67], v[68:69], v[66:67]
	v_fma_f64 v[86:87], v[213:214], s[28:29], v[84:85]
	v_fma_f64 v[68:69], v[213:214], s[28:29], -v[84:85]
	v_mul_f64 v[84:85], v[20:21], s[0:1]
	s_delay_alu instid0(VALU_DEP_3) | instskip(SKIP_1) | instid1(VALU_DEP_4)
	v_add_f64 v[46:47], v[86:87], v[46:47]
	v_mul_f64 v[86:87], v[22:23], s[28:29]
	v_add_f64 v[42:43], v[68:69], v[42:43]
	s_delay_alu instid0(VALU_DEP_2) | instskip(SKIP_2) | instid1(VALU_DEP_3)
	v_fma_f64 v[168:169], v[215:216], s[14:15], v[86:87]
	v_fma_f64 v[68:69], v[215:216], s[38:39], v[86:87]
	v_mul_f64 v[86:87], v[253:254], s[18:19]
	v_add_f64 v[70:71], v[168:169], v[70:71]
	v_mul_f64 v[168:169], v[20:21], s[46:47]
	s_delay_alu instid0(VALU_DEP_4) | instskip(NEXT) | instid1(VALU_DEP_2)
	v_add_f64 v[66:67], v[68:69], v[66:67]
	v_fma_f64 v[170:171], v[4:5], s[36:37], v[168:169]
	v_fma_f64 v[68:69], v[4:5], s[36:37], -v[168:169]
	v_mul_f64 v[168:169], v[249:250], s[40:41]
	s_delay_alu instid0(VALU_DEP_3) | instskip(SKIP_1) | instid1(VALU_DEP_4)
	v_add_f64 v[46:47], v[170:171], v[46:47]
	v_mul_f64 v[170:171], v[253:254], s[36:37]
	v_add_f64 v[42:43], v[68:69], v[42:43]
	s_delay_alu instid0(VALU_DEP_2) | instskip(SKIP_1) | instid1(VALU_DEP_2)
	v_fma_f64 v[206:207], v[6:7], s[42:43], v[170:171]
	v_fma_f64 v[68:69], v[6:7], s[46:47], v[170:171]
	v_add_f64 v[70:71], v[206:207], v[70:71]
	v_mul_f64 v[206:207], v[249:250], s[8:9]
	s_delay_alu instid0(VALU_DEP_3) | instskip(NEXT) | instid1(VALU_DEP_2)
	v_add_f64 v[66:67], v[68:69], v[66:67]
	v_fma_f64 v[208:209], v[0:1], s[24:25], v[206:207]
	v_fma_f64 v[68:69], v[0:1], s[24:25], -v[206:207]
	s_delay_alu instid0(VALU_DEP_2) | instskip(SKIP_1) | instid1(VALU_DEP_3)
	v_add_f64 v[208:209], v[208:209], v[46:47]
	v_mul_f64 v[46:47], v[233:234], s[24:25]
	v_add_f64 v[204:205], v[68:69], v[42:43]
	v_mul_f64 v[42:43], v[40:41], s[48:49]
	v_mul_f64 v[68:69], v[36:37], s[46:47]
	s_delay_alu instid0(VALU_DEP_4) | instskip(SKIP_1) | instid1(VALU_DEP_2)
	v_fma_f64 v[210:211], v[2:3], s[50:51], v[46:47]
	v_fma_f64 v[46:47], v[2:3], s[8:9], v[46:47]
	v_add_f64 v[210:211], v[210:211], v[70:71]
	s_delay_alu instid0(VALU_DEP_2) | instskip(SKIP_4) | instid1(VALU_DEP_4)
	v_add_f64 v[206:207], v[46:47], v[66:67]
	v_fma_f64 v[46:47], v[229:230], s[26:27], v[42:43]
	v_mul_f64 v[66:67], v[38:39], s[26:27]
	v_fma_f64 v[42:43], v[229:230], s[26:27], -v[42:43]
	v_mul_f64 v[70:71], v[34:35], s[36:37]
	v_add_f64 v[46:47], v[46:47], v[64:65]
	s_delay_alu instid0(VALU_DEP_4) | instskip(NEXT) | instid1(VALU_DEP_4)
	v_fma_f64 v[64:65], v[231:232], s[10:11], v[66:67]
	v_add_f64 v[42:43], v[42:43], v[60:61]
	v_fma_f64 v[60:61], v[231:232], s[48:49], v[66:67]
	v_mul_f64 v[66:67], v[38:39], s[30:31]
	v_mul_f64 v[38:39], v[38:39], s[36:37]
	v_add_f64 v[62:63], v[64:65], v[62:63]
	v_fma_f64 v[64:65], v[225:226], s[36:37], v[68:69]
	v_add_f64 v[58:59], v[60:61], v[58:59]
	v_fma_f64 v[60:61], v[225:226], s[36:37], -v[68:69]
	v_mul_f64 v[68:69], v[36:37], s[14:15]
	v_mul_f64 v[36:37], v[36:37], s[2:3]
	v_add_f64 v[46:47], v[64:65], v[46:47]
	v_fma_f64 v[64:65], v[227:228], s[42:43], v[70:71]
	v_add_f64 v[42:43], v[60:61], v[42:43]
	v_fma_f64 v[60:61], v[227:228], s[46:47], v[70:71]
	v_mul_f64 v[70:71], v[34:35], s[28:29]
	v_mul_f64 v[34:35], v[34:35], s[22:23]
	v_add_f64 v[62:63], v[64:65], v[62:63]
	v_fma_f64 v[64:65], v[221:222], s[22:23], v[72:73]
	v_add_f64 v[58:59], v[60:61], v[58:59]
	v_fma_f64 v[60:61], v[221:222], s[22:23], -v[72:73]
	v_mul_f64 v[72:73], v[32:33], s[50:51]
	v_mul_f64 v[32:33], v[32:33], s[44:45]
	v_add_f64 v[46:47], v[64:65], v[46:47]
	;; [unrolled: 12-line block ×4, first 2 shown]
	v_fma_f64 v[64:65], v[215:216], s[44:45], v[82:83]
	v_add_f64 v[42:43], v[60:61], v[42:43]
	v_fma_f64 v[60:61], v[215:216], s[20:21], v[82:83]
	v_mul_f64 v[82:83], v[22:23], s[18:19]
	s_delay_alu instid0(VALU_DEP_4) | instskip(SKIP_1) | instid1(VALU_DEP_4)
	v_add_f64 v[62:63], v[64:65], v[62:63]
	v_fma_f64 v[64:65], v[4:5], s[18:19], v[84:85]
	v_add_f64 v[58:59], v[60:61], v[58:59]
	v_fma_f64 v[60:61], v[4:5], s[18:19], -v[84:85]
	v_mul_f64 v[84:85], v[20:21], s[44:45]
	s_delay_alu instid0(VALU_DEP_4) | instskip(SKIP_1) | instid1(VALU_DEP_4)
	v_add_f64 v[46:47], v[64:65], v[46:47]
	v_fma_f64 v[64:65], v[6:7], s[54:55], v[86:87]
	v_add_f64 v[42:43], v[60:61], v[42:43]
	v_fma_f64 v[60:61], v[6:7], s[0:1], v[86:87]
	v_mul_f64 v[86:87], v[253:254], s[34:35]
	s_delay_alu instid0(VALU_DEP_4) | instskip(SKIP_1) | instid1(VALU_DEP_4)
	v_add_f64 v[64:65], v[64:65], v[62:63]
	v_fma_f64 v[62:63], v[0:1], s[30:31], v[168:169]
	v_add_f64 v[60:61], v[60:61], v[58:59]
	v_fma_f64 v[58:59], v[0:1], s[30:31], -v[168:169]
	v_mul_f64 v[168:169], v[249:250], s[10:11]
	s_delay_alu instid0(VALU_DEP_4) | instskip(SKIP_1) | instid1(VALU_DEP_4)
	v_add_f64 v[62:63], v[62:63], v[46:47]
	v_mul_f64 v[46:47], v[233:234], s[30:31]
	v_add_f64 v[58:59], v[58:59], v[42:43]
	v_mul_f64 v[42:43], v[40:41], s[40:41]
	v_mul_f64 v[40:41], v[40:41], s[42:43]
	s_delay_alu instid0(VALU_DEP_4) | instskip(SKIP_1) | instid1(VALU_DEP_2)
	v_fma_f64 v[170:171], v[2:3], s[16:17], v[46:47]
	v_fma_f64 v[46:47], v[2:3], s[40:41], v[46:47]
	v_add_f64 v[64:65], v[170:171], v[64:65]
	s_delay_alu instid0(VALU_DEP_2) | instskip(SKIP_2) | instid1(VALU_DEP_2)
	v_add_f64 v[60:61], v[46:47], v[60:61]
	v_fma_f64 v[46:47], v[229:230], s[30:31], v[42:43]
	v_fma_f64 v[42:43], v[229:230], s[30:31], -v[42:43]
	v_add_f64 v[46:47], v[46:47], v[56:57]
	v_fma_f64 v[56:57], v[231:232], s[16:17], v[66:67]
	s_delay_alu instid0(VALU_DEP_3) | instskip(SKIP_2) | instid1(VALU_DEP_4)
	v_add_f64 v[42:43], v[42:43], v[52:53]
	v_fma_f64 v[52:53], v[231:232], s[40:41], v[66:67]
	v_mul_f64 v[66:67], v[249:250], s[38:39]
	v_add_f64 v[54:55], v[56:57], v[54:55]
	v_fma_f64 v[56:57], v[225:226], s[28:29], v[68:69]
	s_delay_alu instid0(VALU_DEP_4) | instskip(SKIP_2) | instid1(VALU_DEP_4)
	v_add_f64 v[50:51], v[52:53], v[50:51]
	v_fma_f64 v[52:53], v[225:226], s[28:29], -v[68:69]
	v_mul_f64 v[68:69], v[233:234], s[28:29]
	v_add_f64 v[46:47], v[56:57], v[46:47]
	v_fma_f64 v[56:57], v[227:228], s[38:39], v[70:71]
	s_delay_alu instid0(VALU_DEP_4) | instskip(SKIP_1) | instid1(VALU_DEP_3)
	v_add_f64 v[42:43], v[52:53], v[42:43]
	v_fma_f64 v[52:53], v[227:228], s[14:15], v[70:71]
	v_add_f64 v[54:55], v[56:57], v[54:55]
	v_fma_f64 v[56:57], v[221:222], s[24:25], v[72:73]
	s_delay_alu instid0(VALU_DEP_3) | instskip(SKIP_1) | instid1(VALU_DEP_3)
	v_add_f64 v[50:51], v[52:53], v[50:51]
	v_fma_f64 v[52:53], v[221:222], s[24:25], -v[72:73]
	v_add_f64 v[46:47], v[56:57], v[46:47]
	v_fma_f64 v[56:57], v[223:224], s[8:9], v[74:75]
	s_delay_alu instid0(VALU_DEP_3) | instskip(SKIP_1) | instid1(VALU_DEP_3)
	v_add_f64 v[42:43], v[52:53], v[42:43]
	v_fma_f64 v[52:53], v[223:224], s[50:51], v[74:75]
	v_add_f64 v[54:55], v[56:57], v[54:55]
	v_fma_f64 v[56:57], v[217:218], s[36:37], v[76:77]
	s_delay_alu instid0(VALU_DEP_3) | instskip(SKIP_1) | instid1(VALU_DEP_3)
	v_add_f64 v[50:51], v[52:53], v[50:51]
	v_fma_f64 v[52:53], v[217:218], s[36:37], -v[76:77]
	v_add_f64 v[46:47], v[56:57], v[46:47]
	v_fma_f64 v[56:57], v[219:220], s[42:43], v[78:79]
	s_delay_alu instid0(VALU_DEP_3) | instskip(SKIP_1) | instid1(VALU_DEP_3)
	;; [unrolled: 10-line block ×4, first 2 shown]
	v_add_f64 v[42:43], v[52:53], v[42:43]
	v_fma_f64 v[52:53], v[6:7], s[44:45], v[86:87]
	v_add_f64 v[56:57], v[56:57], v[54:55]
	v_fma_f64 v[54:55], v[0:1], s[26:27], v[168:169]
	s_delay_alu instid0(VALU_DEP_3) | instskip(SKIP_1) | instid1(VALU_DEP_3)
	v_add_f64 v[52:53], v[52:53], v[50:51]
	v_fma_f64 v[50:51], v[0:1], s[26:27], -v[168:169]
	v_add_f64 v[54:55], v[54:55], v[46:47]
	v_mul_f64 v[46:47], v[233:234], s[26:27]
	s_delay_alu instid0(VALU_DEP_3) | instskip(SKIP_1) | instid1(VALU_DEP_3)
	v_add_f64 v[50:51], v[50:51], v[42:43]
	v_fma_f64 v[42:43], v[229:230], s[36:37], v[40:41]
	v_fma_f64 v[170:171], v[2:3], s[48:49], v[46:47]
	;; [unrolled: 1-line block ×3, first 2 shown]
	s_delay_alu instid0(VALU_DEP_3) | instskip(SKIP_1) | instid1(VALU_DEP_4)
	v_add_f64 v[42:43], v[42:43], v[48:49]
	v_mul_f64 v[48:49], v[20:21], s[10:11]
	v_add_f64 v[56:57], v[170:171], v[56:57]
	s_delay_alu instid0(VALU_DEP_4) | instskip(SKIP_1) | instid1(VALU_DEP_4)
	v_add_f64 v[52:53], v[46:47], v[52:53]
	v_fma_f64 v[46:47], v[231:232], s[46:47], v[38:39]
	v_fma_f64 v[20:21], v[4:5], s[26:27], v[48:49]
	;; [unrolled: 1-line block ×3, first 2 shown]
	s_delay_alu instid0(VALU_DEP_3) | instskip(SKIP_2) | instid1(VALU_DEP_2)
	v_add_f64 v[10:11], v[46:47], v[10:11]
	v_fma_f64 v[46:47], v[225:226], s[22:23], v[36:37]
	v_fma_f64 v[36:37], v[225:226], s[22:23], -v[36:37]
	v_add_f64 v[42:43], v[46:47], v[42:43]
	v_fma_f64 v[46:47], v[227:228], s[52:53], v[34:35]
	v_fma_f64 v[34:35], v[227:228], s[2:3], v[34:35]
	s_delay_alu instid0(VALU_DEP_2) | instskip(SKIP_2) | instid1(VALU_DEP_2)
	v_add_f64 v[10:11], v[46:47], v[10:11]
	v_fma_f64 v[46:47], v[221:222], s[34:35], v[32:33]
	v_fma_f64 v[32:33], v[221:222], s[34:35], -v[32:33]
	v_add_f64 v[42:43], v[46:47], v[42:43]
	v_fma_f64 v[46:47], v[223:224], s[20:21], v[30:31]
	v_fma_f64 v[30:31], v[223:224], s[44:45], v[30:31]
	s_delay_alu instid0(VALU_DEP_2) | instskip(SKIP_2) | instid1(VALU_DEP_2)
	;; [unrolled: 7-line block ×3, first 2 shown]
	v_add_f64 v[10:11], v[46:47], v[10:11]
	v_fma_f64 v[46:47], v[213:214], s[30:31], v[24:25]
	v_fma_f64 v[24:25], v[213:214], s[30:31], -v[24:25]
	v_add_f64 v[42:43], v[46:47], v[42:43]
	v_mul_f64 v[46:47], v[22:23], s[30:31]
	s_delay_alu instid0(VALU_DEP_2) | instskip(NEXT) | instid1(VALU_DEP_2)
	v_add_f64 v[20:21], v[20:21], v[42:43]
	v_fma_f64 v[22:23], v[215:216], s[16:17], v[46:47]
	v_mul_f64 v[42:43], v[253:254], s[26:27]
	s_delay_alu instid0(VALU_DEP_2) | instskip(NEXT) | instid1(VALU_DEP_2)
	v_add_f64 v[10:11], v[22:23], v[10:11]
	v_fma_f64 v[22:23], v[6:7], s[48:49], v[42:43]
	s_delay_alu instid0(VALU_DEP_1) | instskip(SKIP_1) | instid1(VALU_DEP_1)
	v_add_f64 v[10:11], v[22:23], v[10:11]
	v_fma_f64 v[22:23], v[0:1], s[28:29], v[66:67]
	v_add_f64 v[20:21], v[22:23], v[20:21]
	v_fma_f64 v[22:23], v[2:3], s[14:15], v[68:69]
	s_delay_alu instid0(VALU_DEP_1)
	v_add_f64 v[22:23], v[22:23], v[10:11]
	v_fma_f64 v[10:11], v[229:230], s[36:37], -v[40:41]
	scratch_load_b64 v[40:41], off, off offset:396 ; 8-byte Folded Reload
	s_waitcnt vmcnt(0)
	s_waitcnt_vscnt null, 0x0
	s_barrier
	buffer_gl0_inv
	v_add_f64 v[10:11], v[10:11], v[138:139]
	s_delay_alu instid0(VALU_DEP_1) | instskip(NEXT) | instid1(VALU_DEP_1)
	v_add_f64 v[10:11], v[36:37], v[10:11]
	v_add_f64 v[10:11], v[32:33], v[10:11]
	v_fma_f64 v[32:33], v[227:228], s[16:17], v[241:242]
	s_delay_alu instid0(VALU_DEP_2) | instskip(SKIP_2) | instid1(VALU_DEP_3)
	v_add_f64 v[10:11], v[28:29], v[10:11]
	v_fma_f64 v[28:29], v[2:3], s[38:39], v[68:69]
	v_fma_f64 v[2:3], v[2:3], s[0:1], v[136:137]
	v_add_f64 v[10:11], v[24:25], v[10:11]
	v_fma_f64 v[24:25], v[215:216], s[40:41], v[46:47]
	v_add_f64 v[38:39], v[38:39], v[40:41]
	s_delay_alu instid0(VALU_DEP_1) | instskip(NEXT) | instid1(VALU_DEP_1)
	v_add_f64 v[34:35], v[34:35], v[38:39]
	v_add_f64 v[30:31], v[30:31], v[34:35]
	v_fma_f64 v[34:35], v[221:222], s[28:29], -v[243:244]
	s_delay_alu instid0(VALU_DEP_2) | instskip(SKIP_1) | instid1(VALU_DEP_2)
	v_add_f64 v[26:27], v[26:27], v[30:31]
	v_fma_f64 v[30:31], v[225:226], s[30:31], -v[239:240]
	v_add_f64 v[24:25], v[24:25], v[26:27]
	v_fma_f64 v[26:27], v[4:5], s[26:27], -v[48:49]
	v_fma_f64 v[4:5], v[4:5], s[22:23], -v[18:19]
	s_delay_alu instid0(VALU_DEP_2) | instskip(SKIP_2) | instid1(VALU_DEP_2)
	v_add_f64 v[10:11], v[26:27], v[10:11]
	v_fma_f64 v[26:27], v[6:7], s[10:11], v[42:43]
	v_fma_f64 v[6:7], v[6:7], s[2:3], v[251:252]
	v_add_f64 v[26:27], v[26:27], v[24:25]
	v_fma_f64 v[24:25], v[0:1], s[28:29], -v[66:67]
	v_fma_f64 v[0:1], v[0:1], s[18:19], -v[8:9]
	s_delay_alu instid0(VALU_DEP_3) | instskip(NEXT) | instid1(VALU_DEP_3)
	v_add_f64 v[26:27], v[28:29], v[26:27]
	v_add_f64 v[24:25], v[24:25], v[10:11]
	v_fma_f64 v[10:11], v[229:230], s[34:35], -v[235:236]
	v_fma_f64 v[28:29], v[231:232], s[20:21], v[237:238]
	s_delay_alu instid0(VALU_DEP_2) | instskip(NEXT) | instid1(VALU_DEP_2)
	v_add_f64 v[10:11], v[10:11], v[132:133]
	v_add_f64 v[28:29], v[28:29], v[134:135]
	s_delay_alu instid0(VALU_DEP_2) | instskip(NEXT) | instid1(VALU_DEP_2)
	v_add_f64 v[10:11], v[30:31], v[10:11]
	v_add_f64 v[28:29], v[32:33], v[28:29]
	v_fma_f64 v[30:31], v[219:220], s[10:11], v[245:246]
	s_delay_alu instid0(VALU_DEP_3) | instskip(NEXT) | instid1(VALU_DEP_3)
	v_add_f64 v[10:11], v[34:35], v[10:11]
	v_add_f64 v[12:13], v[12:13], v[28:29]
	v_fma_f64 v[28:29], v[213:214], s[24:25], -v[247:248]
	s_delay_alu instid0(VALU_DEP_3) | instskip(NEXT) | instid1(VALU_DEP_3)
	v_add_f64 v[10:11], v[14:15], v[10:11]
	v_add_f64 v[12:13], v[30:31], v[12:13]
	s_delay_alu instid0(VALU_DEP_2) | instskip(NEXT) | instid1(VALU_DEP_2)
	v_add_f64 v[10:11], v[28:29], v[10:11]
	v_add_f64 v[12:13], v[16:17], v[12:13]
	s_delay_alu instid0(VALU_DEP_2) | instskip(NEXT) | instid1(VALU_DEP_2)
	;; [unrolled: 3-line block ×3, first 2 shown]
	v_add_f64 v[0:1], v[0:1], v[4:5]
	v_add_f64 v[2:3], v[2:3], v[6:7]
	ds_store_b128 v212, v[172:175] offset:16
	ds_store_b128 v212, v[184:187] offset:32
	;; [unrolled: 1-line block ×16, first 2 shown]
	ds_store_b128 v212, v[176:179]
	s_waitcnt lgkmcnt(0)
	s_barrier
	buffer_gl0_inv
	scratch_load_b128 v[10:13], off, off offset:348 ; 16-byte Folded Reload
	ds_load_b128 v[0:3], v255 offset:544
	s_waitcnt lgkmcnt(0)
	v_mul_f64 v[4:5], v[98:99], v[2:3]
	s_delay_alu instid0(VALU_DEP_1) | instskip(SKIP_1) | instid1(VALU_DEP_1)
	v_fma_f64 v[4:5], v[96:97], v[0:1], v[4:5]
	v_mul_f64 v[0:1], v[98:99], v[0:1]
	v_fma_f64 v[6:7], v[96:97], v[2:3], -v[0:1]
	ds_load_b128 v[0:3], v255 offset:1088
	s_waitcnt vmcnt(0) lgkmcnt(0)
	v_mul_f64 v[8:9], v[12:13], v[2:3]
	s_delay_alu instid0(VALU_DEP_1) | instskip(SKIP_1) | instid1(VALU_DEP_1)
	v_fma_f64 v[96:97], v[10:11], v[0:1], v[8:9]
	v_mul_f64 v[0:1], v[12:13], v[0:1]
	v_fma_f64 v[98:99], v[10:11], v[2:3], -v[0:1]
	scratch_load_b128 v[10:13], off, off offset:332 ; 16-byte Folded Reload
	ds_load_b128 v[0:3], v255 offset:1632
	s_waitcnt vmcnt(0) lgkmcnt(0)
	v_mul_f64 v[8:9], v[12:13], v[2:3]
	s_delay_alu instid0(VALU_DEP_1) | instskip(SKIP_1) | instid1(VALU_DEP_1)
	v_fma_f64 v[172:173], v[10:11], v[0:1], v[8:9]
	v_mul_f64 v[0:1], v[12:13], v[0:1]
	v_fma_f64 v[174:175], v[10:11], v[2:3], -v[0:1]
	scratch_load_b128 v[10:13], off, off offset:316 ; 16-byte Folded Reload
	;; [unrolled: 8-line block ×3, first 2 shown]
	ds_load_b128 v[0:3], v255 offset:2720
	s_waitcnt lgkmcnt(0)
	v_mul_f64 v[8:9], v[110:111], v[2:3]
	s_delay_alu instid0(VALU_DEP_1) | instskip(SKIP_1) | instid1(VALU_DEP_1)
	v_fma_f64 v[180:181], v[108:109], v[0:1], v[8:9]
	v_mul_f64 v[0:1], v[110:111], v[0:1]
	v_fma_f64 v[108:109], v[108:109], v[2:3], -v[0:1]
	ds_load_b128 v[0:3], v255 offset:3264
	s_waitcnt lgkmcnt(0)
	v_mul_f64 v[8:9], v[102:103], v[2:3]
	s_delay_alu instid0(VALU_DEP_1) | instskip(SKIP_1) | instid1(VALU_DEP_1)
	v_fma_f64 v[110:111], v[100:101], v[0:1], v[8:9]
	v_mul_f64 v[0:1], v[102:103], v[0:1]
	v_fma_f64 v[182:183], v[100:101], v[2:3], -v[0:1]
	;; [unrolled: 7-line block ×3, first 2 shown]
	ds_load_b128 v[0:3], v255 offset:4352
	s_waitcnt vmcnt(0) lgkmcnt(0)
	v_mul_f64 v[8:9], v[12:13], v[2:3]
	s_delay_alu instid0(VALU_DEP_1) | instskip(SKIP_1) | instid1(VALU_DEP_1)
	v_fma_f64 v[188:189], v[10:11], v[0:1], v[8:9]
	v_mul_f64 v[0:1], v[12:13], v[0:1]
	v_fma_f64 v[190:191], v[10:11], v[2:3], -v[0:1]
	ds_load_b128 v[0:3], v255 offset:4896
	scratch_load_b128 v[10:13], off, off offset:300 ; 16-byte Folded Reload
	s_waitcnt lgkmcnt(0)
	v_mul_f64 v[8:9], v[122:123], v[2:3]
	s_delay_alu instid0(VALU_DEP_1) | instskip(SKIP_1) | instid1(VALU_DEP_1)
	v_fma_f64 v[192:193], v[120:121], v[0:1], v[8:9]
	v_mul_f64 v[0:1], v[122:123], v[0:1]
	v_fma_f64 v[120:121], v[120:121], v[2:3], -v[0:1]
	ds_load_b128 v[0:3], v255 offset:5440
	s_waitcnt lgkmcnt(0)
	v_mul_f64 v[8:9], v[114:115], v[2:3]
	s_delay_alu instid0(VALU_DEP_1) | instskip(SKIP_1) | instid1(VALU_DEP_1)
	v_fma_f64 v[122:123], v[112:113], v[0:1], v[8:9]
	v_mul_f64 v[0:1], v[114:115], v[0:1]
	v_fma_f64 v[112:113], v[112:113], v[2:3], -v[0:1]
	ds_load_b128 v[0:3], v255 offset:5984
	;; [unrolled: 7-line block ×3, first 2 shown]
	s_waitcnt lgkmcnt(0)
	v_mul_f64 v[8:9], v[94:95], v[2:3]
	s_delay_alu instid0(VALU_DEP_1) | instskip(SKIP_1) | instid1(VALU_DEP_2)
	v_fma_f64 v[196:197], v[92:93], v[0:1], v[8:9]
	v_mul_f64 v[0:1], v[94:95], v[0:1]
	v_add_f64 v[241:242], v[180:181], v[196:197]
	s_delay_alu instid0(VALU_DEP_2) | instskip(SKIP_4) | instid1(VALU_DEP_1)
	v_fma_f64 v[198:199], v[92:93], v[2:3], -v[0:1]
	ds_load_b128 v[0:3], v255 offset:7072
	v_add_f64 v[251:252], v[180:181], -v[196:197]
	s_waitcnt lgkmcnt(0)
	v_mul_f64 v[8:9], v[130:131], v[2:3]
	v_fma_f64 v[200:201], v[128:129], v[0:1], v[8:9]
	v_mul_f64 v[0:1], v[130:131], v[0:1]
	s_delay_alu instid0(VALU_DEP_2) | instskip(NEXT) | instid1(VALU_DEP_2)
	v_add_f64 v[225:226], v[176:177], v[200:201]
	v_fma_f64 v[128:129], v[128:129], v[2:3], -v[0:1]
	ds_load_b128 v[0:3], v255 offset:7616
	v_add_f64 v[227:228], v[176:177], -v[200:201]
	s_waitcnt lgkmcnt(0)
	v_mul_f64 v[8:9], v[126:127], v[2:3]
	s_delay_alu instid0(VALU_DEP_1) | instskip(SKIP_1) | instid1(VALU_DEP_2)
	v_fma_f64 v[130:131], v[124:125], v[0:1], v[8:9]
	v_mul_f64 v[0:1], v[126:127], v[0:1]
	v_add_f64 v[233:234], v[172:173], v[130:131]
	s_delay_alu instid0(VALU_DEP_2)
	v_fma_f64 v[124:125], v[124:125], v[2:3], -v[0:1]
	ds_load_b128 v[0:3], v255 offset:8160
	v_add_f64 v[237:238], v[172:173], -v[130:131]
	s_waitcnt lgkmcnt(0)
	v_mul_f64 v[8:9], v[118:119], v[2:3]
	v_add_f64 v[213:214], v[174:175], v[124:125]
	s_delay_alu instid0(VALU_DEP_2) | instskip(SKIP_1) | instid1(VALU_DEP_3)
	v_fma_f64 v[126:127], v[116:117], v[0:1], v[8:9]
	v_mul_f64 v[0:1], v[118:119], v[0:1]
	v_mul_f64 v[239:240], v[213:214], s[30:31]
	s_delay_alu instid0(VALU_DEP_3) | instskip(NEXT) | instid1(VALU_DEP_3)
	v_add_f64 v[217:218], v[96:97], v[126:127]
	v_fma_f64 v[116:117], v[116:117], v[2:3], -v[0:1]
	ds_load_b128 v[0:3], v255 offset:8704
	v_add_f64 v[221:222], v[96:97], -v[126:127]
	s_waitcnt vmcnt(0) lgkmcnt(0)
	v_mul_f64 v[8:9], v[12:13], v[0:1]
	v_add_f64 v[245:246], v[98:99], -v[116:117]
	v_add_f64 v[247:248], v[98:99], v[116:117]
	s_delay_alu instid0(VALU_DEP_3) | instskip(SKIP_1) | instid1(VALU_DEP_4)
	v_fma_f64 v[118:119], v[10:11], v[2:3], -v[8:9]
	v_mul_f64 v[2:3], v[12:13], v[2:3]
	v_mul_f64 v[219:220], v[245:246], s[20:21]
	s_delay_alu instid0(VALU_DEP_4) | instskip(NEXT) | instid1(VALU_DEP_3)
	v_mul_f64 v[223:224], v[247:248], s[34:35]
	v_fma_f64 v[202:203], v[10:11], v[0:1], v[2:3]
	v_add_f64 v[0:1], v[6:7], -v[118:119]
	s_delay_alu instid0(VALU_DEP_2) | instskip(NEXT) | instid1(VALU_DEP_2)
	v_add_f64 v[20:21], v[4:5], v[202:203]
	v_mul_f64 v[2:3], v[0:1], s[46:47]
	v_mul_f64 v[8:9], v[0:1], s[20:21]
	;; [unrolled: 1-line block ×8, first 2 shown]
	v_add_f64 v[54:55], v[4:5], -v[202:203]
	v_fma_f64 v[22:23], v[20:21], s[36:37], v[2:3]
	v_fma_f64 v[24:25], v[20:21], s[36:37], -v[2:3]
	v_fma_f64 v[26:27], v[20:21], s[34:35], v[8:9]
	v_fma_f64 v[8:9], v[20:21], s[34:35], -v[8:9]
	;; [unrolled: 2-line block ×8, first 2 shown]
	v_add_f64 v[0:1], v[6:7], v[118:119]
	s_delay_alu instid0(VALU_DEP_1)
	v_mul_f64 v[52:53], v[0:1], s[22:23]
	v_mul_f64 v[2:3], v[0:1], s[36:37]
	;; [unrolled: 1-line block ×8, first 2 shown]
	v_fma_f64 v[70:71], v[54:55], s[52:53], v[52:53]
	v_fma_f64 v[52:53], v[54:55], s[2:3], v[52:53]
	;; [unrolled: 1-line block ×16, first 2 shown]
	ds_load_b128 v[0:3], v255
	s_waitcnt lgkmcnt(0)
	v_add_f64 v[4:5], v[0:1], v[4:5]
	v_add_f64 v[74:75], v[0:1], v[8:9]
	;; [unrolled: 1-line block ×26, first 2 shown]
	v_add_f64 v[34:35], v[186:187], -v[112:113]
	v_add_f64 v[40:41], v[186:187], v[112:113]
	v_add_f64 v[48:49], v[190:191], -v[120:121]
	v_add_f64 v[50:51], v[190:191], v[120:121]
	scratch_store_b64 off, v[8:9], off offset:420 ; 8-byte Folded Spill
	v_add_f64 v[8:9], v[0:1], v[38:39]
	scratch_store_b64 off, v[4:5], off offset:332 ; 8-byte Folded Spill
	v_add_f64 v[4:5], v[2:3], v[6:7]
	v_add_f64 v[6:7], v[2:3], v[56:57]
	v_mul_f64 v[168:169], v[28:29], s[26:27]
	v_mul_f64 v[170:171], v[34:35], s[40:41]
	;; [unrolled: 1-line block ×4, first 2 shown]
	scratch_store_b64 off, v[8:9], off offset:412 ; 8-byte Folded Spill
	v_add_f64 v[8:9], v[2:3], v[136:137]
	scratch_store_b64 off, v[4:5], off offset:348 ; 8-byte Folded Spill
	v_add_f64 v[4:5], v[0:1], v[22:23]
	v_add_f64 v[22:23], v[0:1], v[24:25]
	;; [unrolled: 1-line block ×3, first 2 shown]
	v_add_f64 v[20:21], v[182:183], -v[194:195]
	s_clause 0x1
	scratch_store_b64 off, v[8:9], off offset:404
	scratch_store_b64 off, v[0:1], off offset:396
	v_add_f64 v[0:1], v[2:3], v[54:55]
	scratch_store_b64 off, v[22:23], off offset:300 ; 8-byte Folded Spill
	v_add_f64 v[22:23], v[2:3], v[58:59]
	v_mul_f64 v[54:55], v[247:248], s[28:29]
	v_mul_f64 v[138:139], v[20:21], s[48:49]
	scratch_store_b64 off, v[0:1], off offset:364 ; 8-byte Folded Spill
	v_fma_f64 v[0:1], v[217:218], s[34:35], v[219:220]
	scratch_store_b64 off, v[22:23], off offset:316 ; 8-byte Folded Spill
	v_fma_f64 v[56:57], v[221:222], s[38:39], v[54:55]
	v_fma_f64 v[54:55], v[221:222], s[14:15], v[54:55]
	v_add_f64 v[2:3], v[0:1], v[4:5]
	v_fma_f64 v[0:1], v[221:222], s[44:45], v[223:224]
	s_delay_alu instid0(VALU_DEP_4) | instskip(NEXT) | instid1(VALU_DEP_4)
	v_add_f64 v[56:57], v[56:57], v[76:77]
	v_add_f64 v[54:55], v[54:55], v[72:73]
	s_delay_alu instid0(VALU_DEP_3) | instskip(SKIP_1) | instid1(VALU_DEP_1)
	v_add_f64 v[4:5], v[0:1], v[6:7]
	v_add_f64 v[0:1], v[174:175], -v[124:125]
	v_mul_f64 v[235:236], v[0:1], s[16:17]
	v_mul_f64 v[58:59], v[0:1], s[8:9]
	s_delay_alu instid0(VALU_DEP_2) | instskip(NEXT) | instid1(VALU_DEP_2)
	v_fma_f64 v[6:7], v[233:234], s[30:31], v[235:236]
	v_fma_f64 v[60:61], v[233:234], s[24:25], v[58:59]
	s_delay_alu instid0(VALU_DEP_2) | instskip(SKIP_1) | instid1(VALU_DEP_1)
	v_add_f64 v[6:7], v[6:7], v[2:3]
	v_fma_f64 v[2:3], v[237:238], s[40:41], v[239:240]
	v_add_f64 v[8:9], v[2:3], v[4:5]
	v_add_f64 v[4:5], v[178:179], -v[128:129]
	s_delay_alu instid0(VALU_DEP_1) | instskip(NEXT) | instid1(VALU_DEP_1)
	v_mul_f64 v[2:3], v[4:5], s[14:15]
	v_fma_f64 v[10:11], v[225:226], s[28:29], v[2:3]
	v_fma_f64 v[2:3], v[225:226], s[28:29], -v[2:3]
	s_delay_alu instid0(VALU_DEP_2) | instskip(SKIP_1) | instid1(VALU_DEP_1)
	v_add_f64 v[12:13], v[10:11], v[6:7]
	v_add_f64 v[6:7], v[178:179], v[128:129]
	v_mul_f64 v[229:230], v[6:7], s[28:29]
	s_delay_alu instid0(VALU_DEP_1) | instskip(NEXT) | instid1(VALU_DEP_1)
	v_fma_f64 v[10:11], v[227:228], s[38:39], v[229:230]
	v_add_f64 v[8:9], v[10:11], v[8:9]
	v_add_f64 v[10:11], v[108:109], -v[198:199]
	s_delay_alu instid0(VALU_DEP_1) | instskip(NEXT) | instid1(VALU_DEP_1)
	v_mul_f64 v[249:250], v[10:11], s[10:11]
	v_fma_f64 v[14:15], v[241:242], s[26:27], v[249:250]
	s_delay_alu instid0(VALU_DEP_1) | instskip(SKIP_1) | instid1(VALU_DEP_1)
	v_add_f64 v[16:17], v[14:15], v[12:13]
	v_add_f64 v[12:13], v[108:109], v[198:199]
	v_mul_f64 v[253:254], v[12:13], s[26:27]
	v_mul_f64 v[136:137], v[12:13], s[22:23]
	s_delay_alu instid0(VALU_DEP_2) | instskip(NEXT) | instid1(VALU_DEP_1)
	v_fma_f64 v[14:15], v[251:252], s[48:49], v[253:254]
	v_add_f64 v[22:23], v[14:15], v[8:9]
	v_add_f64 v[8:9], v[110:111], v[114:115]
	v_mul_f64 v[14:15], v[20:21], s[8:9]
	s_delay_alu instid0(VALU_DEP_1) | instskip(NEXT) | instid1(VALU_DEP_1)
	v_fma_f64 v[18:19], v[8:9], s[24:25], v[14:15]
	v_add_f64 v[26:27], v[18:19], v[16:17]
	v_add_f64 v[16:17], v[110:111], -v[114:115]
	v_mul_f64 v[18:19], v[28:29], s[24:25]
	s_delay_alu instid0(VALU_DEP_1) | instskip(NEXT) | instid1(VALU_DEP_1)
	v_fma_f64 v[24:25], v[16:17], s[50:51], v[18:19]
	v_add_f64 v[32:33], v[24:25], v[22:23]
	v_add_f64 v[22:23], v[184:185], v[122:123]
	v_mul_f64 v[24:25], v[34:35], s[2:3]
	s_delay_alu instid0(VALU_DEP_1) | instskip(NEXT) | instid1(VALU_DEP_1)
	v_fma_f64 v[30:31], v[22:23], s[22:23], v[24:25]
	v_add_f64 v[38:39], v[30:31], v[26:27]
	v_add_f64 v[26:27], v[184:185], -v[122:123]
	v_mul_f64 v[30:31], v[40:41], s[22:23]
	s_delay_alu instid0(VALU_DEP_1) | instskip(NEXT) | instid1(VALU_DEP_1)
	;; [unrolled: 10-line block ×3, first 2 shown]
	v_fma_f64 v[52:53], v[38:39], s[54:55], v[42:43]
	v_add_f64 v[70:71], v[52:53], v[46:47]
	v_mul_f64 v[46:47], v[245:246], s[14:15]
	s_delay_alu instid0(VALU_DEP_1) | instskip(SKIP_1) | instid1(VALU_DEP_2)
	v_fma_f64 v[52:53], v[217:218], s[28:29], v[46:47]
	v_fma_f64 v[46:47], v[217:218], s[28:29], -v[46:47]
	v_add_f64 v[52:53], v[52:53], v[78:79]
	s_delay_alu instid0(VALU_DEP_2) | instskip(NEXT) | instid1(VALU_DEP_2)
	v_add_f64 v[46:47], v[46:47], v[74:75]
	v_add_f64 v[52:53], v[60:61], v[52:53]
	v_mul_f64 v[60:61], v[213:214], s[24:25]
	s_delay_alu instid0(VALU_DEP_1) | instskip(NEXT) | instid1(VALU_DEP_1)
	v_fma_f64 v[62:63], v[237:238], s[50:51], v[60:61]
	v_add_f64 v[56:57], v[62:63], v[56:57]
	v_mul_f64 v[62:63], v[4:5], s[0:1]
	s_delay_alu instid0(VALU_DEP_1) | instskip(NEXT) | instid1(VALU_DEP_1)
	v_fma_f64 v[64:65], v[225:226], s[18:19], v[62:63]
	;; [unrolled: 4-line block ×4, first 2 shown]
	v_add_f64 v[52:53], v[76:77], v[52:53]
	v_fma_f64 v[76:77], v[251:252], s[2:3], v[136:137]
	s_delay_alu instid0(VALU_DEP_1) | instskip(SKIP_1) | instid1(VALU_DEP_1)
	v_add_f64 v[56:57], v[76:77], v[56:57]
	v_fma_f64 v[76:77], v[8:9], s[26:27], v[138:139]
	v_add_f64 v[52:53], v[76:77], v[52:53]
	v_fma_f64 v[76:77], v[16:17], s[10:11], v[168:169]
	s_delay_alu instid0(VALU_DEP_1) | instskip(SKIP_1) | instid1(VALU_DEP_1)
	v_add_f64 v[56:57], v[76:77], v[56:57]
	v_fma_f64 v[76:77], v[22:23], s[30:31], v[170:171]
	;; [unrolled: 5-line block ×3, first 2 shown]
	v_add_f64 v[76:77], v[76:77], v[52:53]
	v_mul_f64 v[52:53], v[50:51], s[36:37]
	s_delay_alu instid0(VALU_DEP_1) | instskip(SKIP_1) | instid1(VALU_DEP_2)
	v_fma_f64 v[78:79], v[38:39], s[46:47], v[52:53]
	v_fma_f64 v[52:53], v[38:39], s[42:43], v[52:53]
	v_add_f64 v[78:79], v[78:79], v[56:57]
	v_fma_f64 v[56:57], v[233:234], s[24:25], -v[58:59]
	v_mul_f64 v[58:59], v[0:1], s[54:55]
	s_delay_alu instid0(VALU_DEP_2) | instskip(SKIP_1) | instid1(VALU_DEP_3)
	v_add_f64 v[46:47], v[56:57], v[46:47]
	v_fma_f64 v[56:57], v[237:238], s[8:9], v[60:61]
	v_fma_f64 v[60:61], v[233:234], s[18:19], v[58:59]
	s_delay_alu instid0(VALU_DEP_2) | instskip(SKIP_1) | instid1(VALU_DEP_1)
	v_add_f64 v[54:55], v[56:57], v[54:55]
	v_fma_f64 v[56:57], v[225:226], s[18:19], -v[62:63]
	v_add_f64 v[46:47], v[56:57], v[46:47]
	v_fma_f64 v[56:57], v[227:228], s[0:1], v[64:65]
	s_delay_alu instid0(VALU_DEP_1) | instskip(SKIP_1) | instid1(VALU_DEP_1)
	v_add_f64 v[54:55], v[56:57], v[54:55]
	v_fma_f64 v[56:57], v[241:242], s[22:23], -v[66:67]
	v_add_f64 v[46:47], v[56:57], v[46:47]
	v_fma_f64 v[56:57], v[251:252], s[52:53], v[136:137]
	v_mul_f64 v[136:137], v[28:29], s[36:37]
	s_delay_alu instid0(VALU_DEP_2) | instskip(SKIP_2) | instid1(VALU_DEP_2)
	v_add_f64 v[54:55], v[56:57], v[54:55]
	v_fma_f64 v[56:57], v[8:9], s[26:27], -v[138:139]
	v_mul_f64 v[138:139], v[34:35], s[14:15]
	v_add_f64 v[46:47], v[56:57], v[46:47]
	v_fma_f64 v[56:57], v[16:17], s[48:49], v[168:169]
	v_mul_f64 v[168:169], v[40:41], s[28:29]
	s_delay_alu instid0(VALU_DEP_2) | instskip(SKIP_2) | instid1(VALU_DEP_2)
	v_add_f64 v[54:55], v[56:57], v[54:55]
	v_fma_f64 v[56:57], v[22:23], s[30:31], -v[170:171]
	v_mul_f64 v[170:171], v[48:49], s[2:3]
	v_add_f64 v[46:47], v[56:57], v[46:47]
	v_fma_f64 v[56:57], v[26:27], s[40:41], v[132:133]
	v_mul_f64 v[132:133], v[12:13], s[34:35]
	s_delay_alu instid0(VALU_DEP_2) | instskip(SKIP_2) | instid1(VALU_DEP_3)
	v_add_f64 v[54:55], v[56:57], v[54:55]
	v_fma_f64 v[56:57], v[32:33], s[36:37], -v[134:135]
	v_mul_f64 v[134:135], v[20:21], s[46:47]
	v_add_f64 v[74:75], v[52:53], v[54:55]
	s_delay_alu instid0(VALU_DEP_3) | instskip(SKIP_2) | instid1(VALU_DEP_2)
	v_add_f64 v[72:73], v[56:57], v[46:47]
	v_mul_f64 v[46:47], v[245:246], s[8:9]
	v_mul_f64 v[54:55], v[247:248], s[24:25]
	v_fma_f64 v[52:53], v[217:218], s[24:25], v[46:47]
	s_delay_alu instid0(VALU_DEP_2) | instskip(SKIP_2) | instid1(VALU_DEP_4)
	v_fma_f64 v[56:57], v[221:222], s[50:51], v[54:55]
	v_fma_f64 v[46:47], v[217:218], s[24:25], -v[46:47]
	v_fma_f64 v[54:55], v[221:222], s[8:9], v[54:55]
	v_add_f64 v[52:53], v[52:53], v[86:87]
	s_delay_alu instid0(VALU_DEP_4) | instskip(NEXT) | instid1(VALU_DEP_4)
	v_add_f64 v[56:57], v[56:57], v[84:85]
	v_add_f64 v[46:47], v[46:47], v[82:83]
	s_delay_alu instid0(VALU_DEP_4) | instskip(NEXT) | instid1(VALU_DEP_4)
	v_add_f64 v[54:55], v[54:55], v[80:81]
	v_add_f64 v[52:53], v[60:61], v[52:53]
	v_mul_f64 v[60:61], v[213:214], s[18:19]
	s_delay_alu instid0(VALU_DEP_1) | instskip(NEXT) | instid1(VALU_DEP_1)
	v_fma_f64 v[62:63], v[237:238], s[0:1], v[60:61]
	v_add_f64 v[56:57], v[62:63], v[56:57]
	v_mul_f64 v[62:63], v[4:5], s[48:49]
	s_delay_alu instid0(VALU_DEP_1) | instskip(NEXT) | instid1(VALU_DEP_1)
	v_fma_f64 v[64:65], v[225:226], s[26:27], v[62:63]
	;; [unrolled: 4-line block ×4, first 2 shown]
	v_add_f64 v[52:53], v[84:85], v[52:53]
	v_fma_f64 v[84:85], v[251:252], s[20:21], v[132:133]
	s_delay_alu instid0(VALU_DEP_1) | instskip(SKIP_1) | instid1(VALU_DEP_1)
	v_add_f64 v[56:57], v[84:85], v[56:57]
	v_fma_f64 v[84:85], v[8:9], s[36:37], v[134:135]
	v_add_f64 v[52:53], v[84:85], v[52:53]
	v_fma_f64 v[84:85], v[16:17], s[42:43], v[136:137]
	s_delay_alu instid0(VALU_DEP_1) | instskip(SKIP_1) | instid1(VALU_DEP_1)
	v_add_f64 v[56:57], v[84:85], v[56:57]
	v_fma_f64 v[84:85], v[22:23], s[28:29], v[138:139]
	;; [unrolled: 5-line block ×3, first 2 shown]
	v_add_f64 v[84:85], v[84:85], v[52:53]
	v_mul_f64 v[52:53], v[50:51], s[22:23]
	s_delay_alu instid0(VALU_DEP_1) | instskip(SKIP_1) | instid1(VALU_DEP_2)
	v_fma_f64 v[86:87], v[38:39], s[52:53], v[52:53]
	v_fma_f64 v[52:53], v[38:39], s[2:3], v[52:53]
	v_add_f64 v[86:87], v[86:87], v[56:57]
	v_fma_f64 v[56:57], v[233:234], s[18:19], -v[58:59]
	v_mul_f64 v[58:59], v[0:1], s[48:49]
	s_delay_alu instid0(VALU_DEP_2) | instskip(SKIP_1) | instid1(VALU_DEP_3)
	v_add_f64 v[46:47], v[56:57], v[46:47]
	v_fma_f64 v[56:57], v[237:238], s[54:55], v[60:61]
	v_fma_f64 v[60:61], v[233:234], s[26:27], v[58:59]
	s_delay_alu instid0(VALU_DEP_2) | instskip(SKIP_1) | instid1(VALU_DEP_1)
	v_add_f64 v[54:55], v[56:57], v[54:55]
	v_fma_f64 v[56:57], v[225:226], s[26:27], -v[62:63]
	v_add_f64 v[46:47], v[56:57], v[46:47]
	v_fma_f64 v[56:57], v[227:228], s[48:49], v[64:65]
	s_delay_alu instid0(VALU_DEP_1) | instskip(SKIP_1) | instid1(VALU_DEP_1)
	v_add_f64 v[54:55], v[56:57], v[54:55]
	v_fma_f64 v[56:57], v[241:242], s[34:35], -v[66:67]
	v_add_f64 v[46:47], v[56:57], v[46:47]
	v_fma_f64 v[56:57], v[251:252], s[44:45], v[132:133]
	v_mul_f64 v[132:133], v[12:13], s[30:31]
	s_delay_alu instid0(VALU_DEP_2) | instskip(SKIP_2) | instid1(VALU_DEP_2)
	v_add_f64 v[54:55], v[56:57], v[54:55]
	v_fma_f64 v[56:57], v[8:9], s[36:37], -v[134:135]
	v_mul_f64 v[134:135], v[20:21], s[2:3]
	v_add_f64 v[46:47], v[56:57], v[46:47]
	v_fma_f64 v[56:57], v[16:17], s[46:47], v[136:137]
	v_mul_f64 v[136:137], v[28:29], s[22:23]
	s_delay_alu instid0(VALU_DEP_2) | instskip(SKIP_2) | instid1(VALU_DEP_2)
	v_add_f64 v[54:55], v[56:57], v[54:55]
	v_fma_f64 v[56:57], v[22:23], s[28:29], -v[138:139]
	v_mul_f64 v[138:139], v[34:35], s[50:51]
	v_add_f64 v[46:47], v[56:57], v[46:47]
	v_fma_f64 v[56:57], v[26:27], s[14:15], v[168:169]
	v_mul_f64 v[168:169], v[40:41], s[24:25]
	s_delay_alu instid0(VALU_DEP_2) | instskip(SKIP_2) | instid1(VALU_DEP_3)
	v_add_f64 v[54:55], v[56:57], v[54:55]
	v_fma_f64 v[56:57], v[32:33], s[22:23], -v[170:171]
	v_mul_f64 v[170:171], v[48:49], s[44:45]
	v_add_f64 v[82:83], v[52:53], v[54:55]
	s_delay_alu instid0(VALU_DEP_3) | instskip(SKIP_2) | instid1(VALU_DEP_2)
	v_add_f64 v[80:81], v[56:57], v[46:47]
	v_mul_f64 v[46:47], v[245:246], s[0:1]
	v_mul_f64 v[54:55], v[247:248], s[18:19]
	v_fma_f64 v[52:53], v[217:218], s[18:19], v[46:47]
	s_delay_alu instid0(VALU_DEP_2) | instskip(SKIP_2) | instid1(VALU_DEP_4)
	v_fma_f64 v[56:57], v[221:222], s[54:55], v[54:55]
	v_fma_f64 v[46:47], v[217:218], s[18:19], -v[46:47]
	v_fma_f64 v[54:55], v[221:222], s[0:1], v[54:55]
	v_add_f64 v[52:53], v[52:53], v[94:95]
	s_delay_alu instid0(VALU_DEP_4) | instskip(NEXT) | instid1(VALU_DEP_4)
	v_add_f64 v[56:57], v[56:57], v[92:93]
	v_add_f64 v[46:47], v[46:47], v[90:91]
	s_delay_alu instid0(VALU_DEP_4) | instskip(NEXT) | instid1(VALU_DEP_4)
	v_add_f64 v[54:55], v[54:55], v[88:89]
	v_add_f64 v[52:53], v[60:61], v[52:53]
	v_mul_f64 v[60:61], v[213:214], s[26:27]
	s_delay_alu instid0(VALU_DEP_1) | instskip(NEXT) | instid1(VALU_DEP_1)
	v_fma_f64 v[62:63], v[237:238], s[10:11], v[60:61]
	v_add_f64 v[56:57], v[62:63], v[56:57]
	v_mul_f64 v[62:63], v[4:5], s[42:43]
	s_delay_alu instid0(VALU_DEP_1) | instskip(NEXT) | instid1(VALU_DEP_1)
	v_fma_f64 v[64:65], v[225:226], s[36:37], v[62:63]
	;; [unrolled: 4-line block ×4, first 2 shown]
	v_add_f64 v[52:53], v[92:93], v[52:53]
	v_fma_f64 v[92:93], v[251:252], s[40:41], v[132:133]
	s_delay_alu instid0(VALU_DEP_1) | instskip(SKIP_1) | instid1(VALU_DEP_1)
	v_add_f64 v[56:57], v[92:93], v[56:57]
	v_fma_f64 v[92:93], v[8:9], s[22:23], v[134:135]
	v_add_f64 v[52:53], v[92:93], v[52:53]
	v_fma_f64 v[92:93], v[16:17], s[52:53], v[136:137]
	s_delay_alu instid0(VALU_DEP_1) | instskip(SKIP_1) | instid1(VALU_DEP_1)
	v_add_f64 v[56:57], v[92:93], v[56:57]
	v_fma_f64 v[92:93], v[22:23], s[24:25], v[138:139]
	;; [unrolled: 5-line block ×3, first 2 shown]
	v_add_f64 v[92:93], v[92:93], v[52:53]
	v_mul_f64 v[52:53], v[50:51], s[34:35]
	s_delay_alu instid0(VALU_DEP_1) | instskip(SKIP_1) | instid1(VALU_DEP_2)
	v_fma_f64 v[94:95], v[38:39], s[20:21], v[52:53]
	v_fma_f64 v[52:53], v[38:39], s[44:45], v[52:53]
	v_add_f64 v[94:95], v[94:95], v[56:57]
	v_fma_f64 v[56:57], v[233:234], s[26:27], -v[58:59]
	v_mul_f64 v[58:59], v[0:1], s[44:45]
	s_delay_alu instid0(VALU_DEP_2) | instskip(SKIP_1) | instid1(VALU_DEP_3)
	v_add_f64 v[46:47], v[56:57], v[46:47]
	v_fma_f64 v[56:57], v[237:238], s[48:49], v[60:61]
	v_fma_f64 v[60:61], v[233:234], s[34:35], v[58:59]
	s_delay_alu instid0(VALU_DEP_2) | instskip(SKIP_1) | instid1(VALU_DEP_1)
	v_add_f64 v[54:55], v[56:57], v[54:55]
	v_fma_f64 v[56:57], v[225:226], s[36:37], -v[62:63]
	v_add_f64 v[46:47], v[56:57], v[46:47]
	v_fma_f64 v[56:57], v[227:228], s[42:43], v[64:65]
	s_delay_alu instid0(VALU_DEP_1) | instskip(SKIP_1) | instid1(VALU_DEP_1)
	v_add_f64 v[54:55], v[56:57], v[54:55]
	v_fma_f64 v[56:57], v[241:242], s[30:31], -v[66:67]
	v_add_f64 v[46:47], v[56:57], v[46:47]
	v_fma_f64 v[56:57], v[251:252], s[16:17], v[132:133]
	v_mul_f64 v[132:133], v[12:13], s[18:19]
	s_delay_alu instid0(VALU_DEP_2) | instskip(SKIP_2) | instid1(VALU_DEP_2)
	v_add_f64 v[54:55], v[56:57], v[54:55]
	v_fma_f64 v[56:57], v[8:9], s[22:23], -v[134:135]
	v_mul_f64 v[134:135], v[20:21], s[38:39]
	v_add_f64 v[46:47], v[56:57], v[46:47]
	v_fma_f64 v[56:57], v[16:17], s[2:3], v[136:137]
	v_mul_f64 v[136:137], v[28:29], s[28:29]
	s_delay_alu instid0(VALU_DEP_2) | instskip(SKIP_2) | instid1(VALU_DEP_2)
	v_add_f64 v[54:55], v[56:57], v[54:55]
	v_fma_f64 v[56:57], v[22:23], s[24:25], -v[138:139]
	v_mul_f64 v[138:139], v[34:35], s[46:47]
	v_add_f64 v[46:47], v[56:57], v[46:47]
	v_fma_f64 v[56:57], v[26:27], s[50:51], v[168:169]
	v_mul_f64 v[168:169], v[40:41], s[36:37]
	s_delay_alu instid0(VALU_DEP_2) | instskip(SKIP_2) | instid1(VALU_DEP_3)
	v_add_f64 v[54:55], v[56:57], v[54:55]
	v_fma_f64 v[56:57], v[32:33], s[34:35], -v[170:171]
	v_mul_f64 v[170:171], v[48:49], s[8:9]
	v_add_f64 v[90:91], v[52:53], v[54:55]
	s_delay_alu instid0(VALU_DEP_3) | instskip(SKIP_2) | instid1(VALU_DEP_2)
	v_add_f64 v[88:89], v[56:57], v[46:47]
	v_mul_f64 v[46:47], v[245:246], s[52:53]
	v_mul_f64 v[54:55], v[247:248], s[22:23]
	v_fma_f64 v[52:53], v[217:218], s[22:23], v[46:47]
	s_delay_alu instid0(VALU_DEP_2) | instskip(SKIP_2) | instid1(VALU_DEP_4)
	v_fma_f64 v[56:57], v[221:222], s[2:3], v[54:55]
	v_fma_f64 v[46:47], v[217:218], s[22:23], -v[46:47]
	v_fma_f64 v[54:55], v[221:222], s[52:53], v[54:55]
	v_add_f64 v[52:53], v[52:53], v[106:107]
	s_delay_alu instid0(VALU_DEP_4) | instskip(NEXT) | instid1(VALU_DEP_4)
	v_add_f64 v[56:57], v[56:57], v[104:105]
	v_add_f64 v[46:47], v[46:47], v[102:103]
	s_delay_alu instid0(VALU_DEP_4) | instskip(NEXT) | instid1(VALU_DEP_4)
	v_add_f64 v[54:55], v[54:55], v[100:101]
	v_add_f64 v[52:53], v[60:61], v[52:53]
	v_mul_f64 v[60:61], v[213:214], s[34:35]
	s_delay_alu instid0(VALU_DEP_1) | instskip(NEXT) | instid1(VALU_DEP_1)
	v_fma_f64 v[62:63], v[237:238], s[20:21], v[60:61]
	v_add_f64 v[56:57], v[62:63], v[56:57]
	v_mul_f64 v[62:63], v[4:5], s[16:17]
	s_delay_alu instid0(VALU_DEP_1) | instskip(NEXT) | instid1(VALU_DEP_1)
	v_fma_f64 v[64:65], v[225:226], s[30:31], v[62:63]
	;; [unrolled: 4-line block ×4, first 2 shown]
	v_add_f64 v[52:53], v[104:105], v[52:53]
	v_fma_f64 v[104:105], v[251:252], s[54:55], v[132:133]
	s_delay_alu instid0(VALU_DEP_1) | instskip(SKIP_1) | instid1(VALU_DEP_1)
	v_add_f64 v[56:57], v[104:105], v[56:57]
	v_fma_f64 v[104:105], v[8:9], s[28:29], v[134:135]
	v_add_f64 v[52:53], v[104:105], v[52:53]
	v_fma_f64 v[104:105], v[16:17], s[14:15], v[136:137]
	s_delay_alu instid0(VALU_DEP_1) | instskip(SKIP_1) | instid1(VALU_DEP_1)
	v_add_f64 v[56:57], v[104:105], v[56:57]
	v_fma_f64 v[104:105], v[22:23], s[36:37], v[138:139]
	;; [unrolled: 5-line block ×3, first 2 shown]
	v_add_f64 v[104:105], v[104:105], v[52:53]
	v_mul_f64 v[52:53], v[50:51], s[24:25]
	s_delay_alu instid0(VALU_DEP_1) | instskip(SKIP_1) | instid1(VALU_DEP_2)
	v_fma_f64 v[106:107], v[38:39], s[50:51], v[52:53]
	v_fma_f64 v[52:53], v[38:39], s[8:9], v[52:53]
	v_add_f64 v[106:107], v[106:107], v[56:57]
	v_fma_f64 v[56:57], v[233:234], s[34:35], -v[58:59]
	v_mul_f64 v[58:59], v[0:1], s[46:47]
	s_delay_alu instid0(VALU_DEP_2) | instskip(SKIP_1) | instid1(VALU_DEP_3)
	v_add_f64 v[46:47], v[56:57], v[46:47]
	v_fma_f64 v[56:57], v[237:238], s[44:45], v[60:61]
	v_fma_f64 v[60:61], v[233:234], s[36:37], v[58:59]
	v_fma_f64 v[58:59], v[233:234], s[36:37], -v[58:59]
	s_delay_alu instid0(VALU_DEP_3) | instskip(SKIP_1) | instid1(VALU_DEP_1)
	v_add_f64 v[54:55], v[56:57], v[54:55]
	v_fma_f64 v[56:57], v[225:226], s[30:31], -v[62:63]
	v_add_f64 v[46:47], v[56:57], v[46:47]
	v_fma_f64 v[56:57], v[227:228], s[16:17], v[64:65]
	s_delay_alu instid0(VALU_DEP_1) | instskip(SKIP_1) | instid1(VALU_DEP_1)
	v_add_f64 v[54:55], v[56:57], v[54:55]
	v_fma_f64 v[56:57], v[241:242], s[18:19], -v[66:67]
	v_add_f64 v[46:47], v[56:57], v[46:47]
	v_fma_f64 v[56:57], v[251:252], s[0:1], v[132:133]
	s_delay_alu instid0(VALU_DEP_1) | instskip(SKIP_1) | instid1(VALU_DEP_1)
	;; [unrolled: 5-line block ×3, first 2 shown]
	v_add_f64 v[54:55], v[56:57], v[54:55]
	v_fma_f64 v[56:57], v[22:23], s[36:37], -v[138:139]
	v_add_f64 v[46:47], v[56:57], v[46:47]
	v_fma_f64 v[56:57], v[26:27], s[46:47], v[168:169]
	s_delay_alu instid0(VALU_DEP_1) | instskip(SKIP_1) | instid1(VALU_DEP_2)
	v_add_f64 v[54:55], v[56:57], v[54:55]
	v_fma_f64 v[56:57], v[32:33], s[24:25], -v[170:171]
	v_add_f64 v[102:103], v[52:53], v[54:55]
	s_delay_alu instid0(VALU_DEP_2) | instskip(SKIP_2) | instid1(VALU_DEP_2)
	v_add_f64 v[100:101], v[56:57], v[46:47]
	v_mul_f64 v[46:47], v[245:246], s[48:49]
	v_mul_f64 v[56:57], v[247:248], s[26:27]
	v_fma_f64 v[52:53], v[217:218], s[26:27], v[46:47]
	s_delay_alu instid0(VALU_DEP_2) | instskip(SKIP_2) | instid1(VALU_DEP_4)
	v_fma_f64 v[54:55], v[221:222], s[10:11], v[56:57]
	v_fma_f64 v[46:47], v[217:218], s[26:27], -v[46:47]
	v_fma_f64 v[56:57], v[221:222], s[48:49], v[56:57]
	v_add_f64 v[52:53], v[52:53], v[204:205]
	s_delay_alu instid0(VALU_DEP_4) | instskip(NEXT) | instid1(VALU_DEP_4)
	v_add_f64 v[54:55], v[54:55], v[206:207]
	v_add_f64 v[46:47], v[46:47], v[208:209]
	s_delay_alu instid0(VALU_DEP_4) | instskip(NEXT) | instid1(VALU_DEP_4)
	v_add_f64 v[56:57], v[56:57], v[243:244]
	v_add_f64 v[52:53], v[60:61], v[52:53]
	v_mul_f64 v[60:61], v[213:214], s[36:37]
	s_delay_alu instid0(VALU_DEP_4) | instskip(NEXT) | instid1(VALU_DEP_2)
	v_add_f64 v[46:47], v[58:59], v[46:47]
	v_fma_f64 v[62:63], v[237:238], s[42:43], v[60:61]
	v_fma_f64 v[58:59], v[237:238], s[46:47], v[60:61]
	s_delay_alu instid0(VALU_DEP_2) | instskip(SKIP_1) | instid1(VALU_DEP_3)
	v_add_f64 v[54:55], v[62:63], v[54:55]
	v_mul_f64 v[62:63], v[4:5], s[2:3]
	v_add_f64 v[56:57], v[58:59], v[56:57]
	s_delay_alu instid0(VALU_DEP_2) | instskip(SKIP_1) | instid1(VALU_DEP_2)
	v_fma_f64 v[64:65], v[225:226], s[22:23], v[62:63]
	v_fma_f64 v[58:59], v[225:226], s[22:23], -v[62:63]
	v_add_f64 v[52:53], v[64:65], v[52:53]
	v_mul_f64 v[64:65], v[6:7], s[22:23]
	s_delay_alu instid0(VALU_DEP_3) | instskip(NEXT) | instid1(VALU_DEP_2)
	v_add_f64 v[46:47], v[58:59], v[46:47]
	v_fma_f64 v[66:67], v[227:228], s[52:53], v[64:65]
	v_fma_f64 v[58:59], v[227:228], s[2:3], v[64:65]
	v_mul_f64 v[64:65], v[247:248], s[30:31]
	s_delay_alu instid0(VALU_DEP_3) | instskip(SKIP_1) | instid1(VALU_DEP_4)
	v_add_f64 v[54:55], v[66:67], v[54:55]
	v_mul_f64 v[66:67], v[10:11], s[38:39]
	v_add_f64 v[56:57], v[58:59], v[56:57]
	s_delay_alu instid0(VALU_DEP_4) | instskip(SKIP_1) | instid1(VALU_DEP_4)
	v_fma_f64 v[62:63], v[221:222], s[16:17], v[64:65]
	v_fma_f64 v[64:65], v[221:222], s[40:41], v[64:65]
	;; [unrolled: 1-line block ×3, first 2 shown]
	v_fma_f64 v[58:59], v[241:242], s[28:29], -v[66:67]
	v_mul_f64 v[66:67], v[0:1], s[14:15]
	v_add_f64 v[62:63], v[62:63], v[231:232]
	v_mul_f64 v[0:1], v[0:1], s[2:3]
	v_add_f64 v[52:53], v[132:133], v[52:53]
	;; [unrolled: 2-line block ×3, first 2 shown]
	s_delay_alu instid0(VALU_DEP_2) | instskip(SKIP_3) | instid1(VALU_DEP_4)
	v_fma_f64 v[134:135], v[251:252], s[14:15], v[132:133]
	v_fma_f64 v[58:59], v[251:252], s[38:39], v[132:133]
	;; [unrolled: 1-line block ×3, first 2 shown]
	v_fma_f64 v[66:67], v[233:234], s[28:29], -v[66:67]
	v_add_f64 v[54:55], v[134:135], v[54:55]
	v_mul_f64 v[134:135], v[20:21], s[20:21]
	v_add_f64 v[56:57], v[58:59], v[56:57]
	s_delay_alu instid0(VALU_DEP_2) | instskip(SKIP_1) | instid1(VALU_DEP_2)
	v_fma_f64 v[136:137], v[8:9], s[34:35], v[134:135]
	v_fma_f64 v[58:59], v[8:9], s[34:35], -v[134:135]
	v_add_f64 v[52:53], v[136:137], v[52:53]
	v_mul_f64 v[136:137], v[28:29], s[34:35]
	s_delay_alu instid0(VALU_DEP_3) | instskip(NEXT) | instid1(VALU_DEP_2)
	v_add_f64 v[46:47], v[58:59], v[46:47]
	v_fma_f64 v[138:139], v[16:17], s[44:45], v[136:137]
	v_fma_f64 v[58:59], v[16:17], s[20:21], v[136:137]
	s_delay_alu instid0(VALU_DEP_2) | instskip(SKIP_1) | instid1(VALU_DEP_3)
	v_add_f64 v[54:55], v[138:139], v[54:55]
	v_mul_f64 v[138:139], v[34:35], s[0:1]
	v_add_f64 v[56:57], v[58:59], v[56:57]
	s_delay_alu instid0(VALU_DEP_2) | instskip(SKIP_1) | instid1(VALU_DEP_2)
	v_fma_f64 v[168:169], v[22:23], s[18:19], v[138:139]
	v_fma_f64 v[58:59], v[22:23], s[18:19], -v[138:139]
	v_add_f64 v[52:53], v[168:169], v[52:53]
	v_mul_f64 v[168:169], v[40:41], s[18:19]
	s_delay_alu instid0(VALU_DEP_3) | instskip(NEXT) | instid1(VALU_DEP_2)
	v_add_f64 v[46:47], v[58:59], v[46:47]
	v_fma_f64 v[170:171], v[26:27], s[54:55], v[168:169]
	v_fma_f64 v[58:59], v[26:27], s[0:1], v[168:169]
	s_delay_alu instid0(VALU_DEP_2) | instskip(SKIP_1) | instid1(VALU_DEP_3)
	v_add_f64 v[54:55], v[170:171], v[54:55]
	v_mul_f64 v[170:171], v[48:49], s[40:41]
	v_add_f64 v[58:59], v[58:59], v[56:57]
	s_delay_alu instid0(VALU_DEP_2) | instskip(SKIP_1) | instid1(VALU_DEP_2)
	v_fma_f64 v[204:205], v[32:33], s[30:31], v[170:171]
	v_fma_f64 v[56:57], v[32:33], s[30:31], -v[170:171]
	v_add_f64 v[52:53], v[204:205], v[52:53]
	v_mul_f64 v[204:205], v[50:51], s[30:31]
	s_delay_alu instid0(VALU_DEP_3) | instskip(SKIP_1) | instid1(VALU_DEP_3)
	v_add_f64 v[56:57], v[56:57], v[46:47]
	v_mul_f64 v[46:47], v[245:246], s[40:41]
	v_fma_f64 v[60:61], v[38:39], s[40:41], v[204:205]
	v_fma_f64 v[206:207], v[38:39], s[16:17], v[204:205]
	s_delay_alu instid0(VALU_DEP_2) | instskip(NEXT) | instid1(VALU_DEP_4)
	v_add_f64 v[58:59], v[60:61], v[58:59]
	v_fma_f64 v[60:61], v[217:218], s[30:31], v[46:47]
	v_fma_f64 v[46:47], v[217:218], s[30:31], -v[46:47]
	s_delay_alu instid0(VALU_DEP_4) | instskip(NEXT) | instid1(VALU_DEP_3)
	v_add_f64 v[54:55], v[206:207], v[54:55]
	v_add_f64 v[60:61], v[60:61], v[210:211]
	s_delay_alu instid0(VALU_DEP_3) | instskip(SKIP_4) | instid1(VALU_DEP_2)
	v_add_f64 v[46:47], v[46:47], v[215:216]
	scratch_load_b64 v[215:216], off, off offset:420 ; 8-byte Folded Reload
	v_add_f64 v[60:61], v[132:133], v[60:61]
	v_mul_f64 v[132:133], v[213:214], s[28:29]
	v_add_f64 v[46:47], v[66:67], v[46:47]
	v_fma_f64 v[134:135], v[237:238], s[38:39], v[132:133]
	v_fma_f64 v[66:67], v[237:238], s[14:15], v[132:133]
	s_delay_alu instid0(VALU_DEP_2) | instskip(SKIP_1) | instid1(VALU_DEP_1)
	v_add_f64 v[62:63], v[134:135], v[62:63]
	v_mul_f64 v[134:135], v[4:5], s[50:51]
	v_fma_f64 v[136:137], v[225:226], s[24:25], v[134:135]
	s_delay_alu instid0(VALU_DEP_1) | instskip(SKIP_1) | instid1(VALU_DEP_1)
	v_add_f64 v[60:61], v[136:137], v[60:61]
	v_mul_f64 v[136:137], v[6:7], s[24:25]
	v_fma_f64 v[138:139], v[227:228], s[8:9], v[136:137]
	s_delay_alu instid0(VALU_DEP_1) | instskip(SKIP_2) | instid1(VALU_DEP_2)
	v_add_f64 v[62:63], v[138:139], v[62:63]
	v_mul_f64 v[138:139], v[10:11], s[46:47]
	v_mul_f64 v[10:11], v[10:11], s[8:9]
	v_fma_f64 v[168:169], v[241:242], s[36:37], v[138:139]
	s_waitcnt vmcnt(0)
	v_add_f64 v[64:65], v[64:65], v[215:216]
	s_delay_alu instid0(VALU_DEP_2) | instskip(SKIP_2) | instid1(VALU_DEP_4)
	v_add_f64 v[60:61], v[168:169], v[60:61]
	v_mul_f64 v[168:169], v[12:13], s[36:37]
	v_mul_f64 v[12:13], v[12:13], s[24:25]
	v_add_f64 v[64:65], v[66:67], v[64:65]
	v_fma_f64 v[66:67], v[225:226], s[24:25], -v[134:135]
	scratch_load_b64 v[134:135], off, off offset:412 ; 8-byte Folded Reload
	v_fma_f64 v[170:171], v[251:252], s[42:43], v[168:169]
	v_add_f64 v[46:47], v[66:67], v[46:47]
	v_fma_f64 v[66:67], v[227:228], s[50:51], v[136:137]
	s_delay_alu instid0(VALU_DEP_3) | instskip(SKIP_2) | instid1(VALU_DEP_4)
	v_add_f64 v[62:63], v[170:171], v[62:63]
	v_mul_f64 v[170:171], v[20:21], s[0:1]
	v_mul_f64 v[20:21], v[20:21], s[40:41]
	v_add_f64 v[64:65], v[66:67], v[64:65]
	v_fma_f64 v[66:67], v[241:242], s[36:37], -v[138:139]
	scratch_load_b64 v[138:139], off, off offset:404 ; 8-byte Folded Reload
	v_fma_f64 v[204:205], v[8:9], s[18:19], v[170:171]
	v_add_f64 v[46:47], v[66:67], v[46:47]
	v_fma_f64 v[66:67], v[251:252], s[46:47], v[168:169]
	s_delay_alu instid0(VALU_DEP_3) | instskip(SKIP_2) | instid1(VALU_DEP_4)
	v_add_f64 v[60:61], v[204:205], v[60:61]
	v_mul_f64 v[204:205], v[28:29], s[18:19]
	v_mul_f64 v[28:29], v[28:29], s[30:31]
	v_add_f64 v[64:65], v[66:67], v[64:65]
	v_fma_f64 v[66:67], v[8:9], s[18:19], -v[170:171]
	s_delay_alu instid0(VALU_DEP_4) | instskip(NEXT) | instid1(VALU_DEP_2)
	v_fma_f64 v[206:207], v[16:17], s[54:55], v[204:205]
	v_add_f64 v[46:47], v[66:67], v[46:47]
	v_fma_f64 v[66:67], v[16:17], s[0:1], v[204:205]
	s_delay_alu instid0(VALU_DEP_3) | instskip(SKIP_2) | instid1(VALU_DEP_4)
	v_add_f64 v[62:63], v[206:207], v[62:63]
	v_mul_f64 v[206:207], v[34:35], s[44:45]
	v_mul_f64 v[34:35], v[34:35], s[10:11]
	v_add_f64 v[64:65], v[66:67], v[64:65]
	s_delay_alu instid0(VALU_DEP_3) | instskip(SKIP_1) | instid1(VALU_DEP_2)
	v_fma_f64 v[208:209], v[22:23], s[34:35], v[206:207]
	v_fma_f64 v[66:67], v[22:23], s[34:35], -v[206:207]
	v_add_f64 v[60:61], v[208:209], v[60:61]
	v_mul_f64 v[208:209], v[40:41], s[34:35]
	s_delay_alu instid0(VALU_DEP_3) | instskip(SKIP_1) | instid1(VALU_DEP_3)
	v_add_f64 v[46:47], v[66:67], v[46:47]
	v_mul_f64 v[40:41], v[40:41], s[26:27]
	v_fma_f64 v[210:211], v[26:27], s[20:21], v[208:209]
	v_fma_f64 v[66:67], v[26:27], s[44:45], v[208:209]
	s_delay_alu instid0(VALU_DEP_2) | instskip(SKIP_1) | instid1(VALU_DEP_3)
	v_add_f64 v[62:63], v[210:211], v[62:63]
	v_mul_f64 v[210:211], v[48:49], s[10:11]
	v_add_f64 v[66:67], v[66:67], v[64:65]
	v_mul_f64 v[48:49], v[48:49], s[38:39]
	s_delay_alu instid0(VALU_DEP_3) | instskip(SKIP_1) | instid1(VALU_DEP_2)
	v_fma_f64 v[231:232], v[32:33], s[26:27], v[210:211]
	v_fma_f64 v[64:65], v[32:33], s[26:27], -v[210:211]
	v_add_f64 v[60:61], v[231:232], v[60:61]
	v_mul_f64 v[231:232], v[50:51], s[26:27]
	s_delay_alu instid0(VALU_DEP_3) | instskip(SKIP_2) | instid1(VALU_DEP_4)
	v_add_f64 v[64:65], v[64:65], v[46:47]
	v_mul_f64 v[46:47], v[245:246], s[42:43]
	v_mul_f64 v[50:51], v[50:51], s[28:29]
	v_fma_f64 v[132:133], v[38:39], s[10:11], v[231:232]
	v_fma_f64 v[243:244], v[38:39], s[48:49], v[231:232]
	s_delay_alu instid0(VALU_DEP_2) | instskip(SKIP_2) | instid1(VALU_DEP_4)
	v_add_f64 v[66:67], v[132:133], v[66:67]
	v_fma_f64 v[132:133], v[217:218], s[36:37], v[46:47]
	v_fma_f64 v[46:47], v[217:218], s[36:37], -v[46:47]
	v_add_f64 v[62:63], v[243:244], v[62:63]
	s_waitcnt vmcnt(1)
	s_delay_alu instid0(VALU_DEP_3) | instskip(SKIP_1) | instid1(VALU_DEP_1)
	v_add_f64 v[132:133], v[132:133], v[134:135]
	v_mul_f64 v[134:135], v[247:248], s[36:37]
	v_fma_f64 v[136:137], v[221:222], s[46:47], v[134:135]
	v_fma_f64 v[134:135], v[221:222], s[42:43], v[134:135]
	s_waitcnt vmcnt(0)
	s_delay_alu instid0(VALU_DEP_2) | instskip(SKIP_2) | instid1(VALU_DEP_2)
	v_add_f64 v[136:137], v[136:137], v[138:139]
	v_fma_f64 v[138:139], v[233:234], s[22:23], v[0:1]
	v_fma_f64 v[0:1], v[233:234], s[22:23], -v[0:1]
	v_add_f64 v[132:133], v[138:139], v[132:133]
	v_mul_f64 v[138:139], v[213:214], s[22:23]
	s_delay_alu instid0(VALU_DEP_1) | instskip(NEXT) | instid1(VALU_DEP_1)
	v_fma_f64 v[168:169], v[237:238], s[52:53], v[138:139]
	v_add_f64 v[136:137], v[168:169], v[136:137]
	v_mul_f64 v[168:169], v[4:5], s[44:45]
	s_delay_alu instid0(VALU_DEP_1) | instskip(NEXT) | instid1(VALU_DEP_1)
	v_fma_f64 v[4:5], v[225:226], s[34:35], v[168:169]
	v_add_f64 v[4:5], v[4:5], v[132:133]
	v_mul_f64 v[132:133], v[6:7], s[34:35]
	s_delay_alu instid0(VALU_DEP_1) | instskip(SKIP_1) | instid1(VALU_DEP_2)
	v_fma_f64 v[6:7], v[227:228], s[20:21], v[132:133]
	v_fma_f64 v[132:133], v[227:228], s[44:45], v[132:133]
	v_add_f64 v[6:7], v[6:7], v[136:137]
	v_fma_f64 v[136:137], v[241:242], s[24:25], v[10:11]
	v_fma_f64 v[10:11], v[241:242], s[24:25], -v[10:11]
	s_delay_alu instid0(VALU_DEP_2) | instskip(SKIP_1) | instid1(VALU_DEP_1)
	v_add_f64 v[4:5], v[136:137], v[4:5]
	v_fma_f64 v[136:137], v[251:252], s[50:51], v[12:13]
	v_add_f64 v[6:7], v[136:137], v[6:7]
	v_fma_f64 v[136:137], v[8:9], s[30:31], v[20:21]
	s_delay_alu instid0(VALU_DEP_1) | instskip(SKIP_1) | instid1(VALU_DEP_1)
	v_add_f64 v[4:5], v[136:137], v[4:5]
	v_fma_f64 v[136:137], v[16:17], s[16:17], v[28:29]
	v_add_f64 v[6:7], v[136:137], v[6:7]
	v_fma_f64 v[136:137], v[22:23], s[26:27], v[34:35]
	s_delay_alu instid0(VALU_DEP_1) | instskip(SKIP_1) | instid1(VALU_DEP_1)
	;; [unrolled: 5-line block ×3, first 2 shown]
	v_add_f64 v[4:5], v[136:137], v[4:5]
	v_fma_f64 v[136:137], v[38:39], s[14:15], v[50:51]
	v_add_f64 v[6:7], v[136:137], v[6:7]
	scratch_load_b64 v[136:137], off, off offset:396 ; 8-byte Folded Reload
	s_waitcnt vmcnt(0)
	v_add_f64 v[46:47], v[46:47], v[136:137]
	scratch_load_b64 v[136:137], off, off offset:364 ; 8-byte Folded Reload
	v_add_f64 v[0:1], v[0:1], v[46:47]
	v_fma_f64 v[46:47], v[237:238], s[2:3], v[138:139]
	s_waitcnt vmcnt(0)
	v_add_f64 v[134:135], v[134:135], v[136:137]
	s_delay_alu instid0(VALU_DEP_1) | instskip(SKIP_1) | instid1(VALU_DEP_2)
	v_add_f64 v[46:47], v[46:47], v[134:135]
	v_fma_f64 v[134:135], v[225:226], s[34:35], -v[168:169]
	v_add_f64 v[46:47], v[132:133], v[46:47]
	s_delay_alu instid0(VALU_DEP_2) | instskip(NEXT) | instid1(VALU_DEP_1)
	v_add_f64 v[0:1], v[134:135], v[0:1]
	v_add_f64 v[0:1], v[10:11], v[0:1]
	v_fma_f64 v[10:11], v[251:252], s[8:9], v[12:13]
	v_fma_f64 v[12:13], v[8:9], s[30:31], -v[20:21]
	v_fma_f64 v[20:21], v[38:39], s[38:39], v[50:51]
	v_fma_f64 v[8:9], v[8:9], s[24:25], -v[14:15]
	v_fma_f64 v[14:15], v[16:17], s[8:9], v[18:19]
	v_add_f64 v[10:11], v[10:11], v[46:47]
	v_add_f64 v[0:1], v[12:13], v[0:1]
	v_fma_f64 v[12:13], v[16:17], s[40:41], v[28:29]
	v_fma_f64 v[28:29], v[233:234], s[30:31], -v[235:236]
	s_delay_alu instid0(VALU_DEP_2) | instskip(SKIP_2) | instid1(VALU_DEP_2)
	v_add_f64 v[10:11], v[12:13], v[10:11]
	v_fma_f64 v[12:13], v[22:23], s[26:27], -v[34:35]
	v_fma_f64 v[34:35], v[237:238], s[16:17], v[239:240]
	v_add_f64 v[0:1], v[12:13], v[0:1]
	v_fma_f64 v[12:13], v[26:27], s[10:11], v[40:41]
	scratch_load_b64 v[40:41], off, off offset:300 ; 8-byte Folded Reload
	v_add_f64 v[12:13], v[12:13], v[10:11]
	v_fma_f64 v[10:11], v[32:33], s[28:29], -v[48:49]
	s_delay_alu instid0(VALU_DEP_2) | instskip(NEXT) | instid1(VALU_DEP_2)
	v_add_f64 v[12:13], v[20:21], v[12:13]
	v_add_f64 v[10:11], v[10:11], v[0:1]
	s_clause 0x1
	scratch_load_b64 v[0:1], off, off offset:332
	scratch_load_b64 v[20:21], off, off offset:348
	s_waitcnt vmcnt(1)
	v_add_f64 v[0:1], v[0:1], v[96:97]
	s_delay_alu instid0(VALU_DEP_1) | instskip(NEXT) | instid1(VALU_DEP_1)
	v_add_f64 v[0:1], v[0:1], v[172:173]
	v_add_f64 v[0:1], v[0:1], v[176:177]
	s_delay_alu instid0(VALU_DEP_1) | instskip(NEXT) | instid1(VALU_DEP_1)
	v_add_f64 v[0:1], v[0:1], v[180:181]
	;; [unrolled: 3-line block ×7, first 2 shown]
	v_add_f64 v[46:47], v[0:1], v[202:203]
	v_fma_f64 v[0:1], v[217:218], s[34:35], -v[219:220]
	s_delay_alu instid0(VALU_DEP_1)
	v_add_f64 v[0:1], v[0:1], v[40:41]
	scratch_load_b64 v[40:41], off, off offset:316 ; 8-byte Folded Reload
	s_waitcnt vmcnt(1)
	v_add_f64 v[20:21], v[20:21], v[98:99]
	s_waitcnt vmcnt(0)
	s_waitcnt_vscnt null, 0x0
	s_barrier
	buffer_gl0_inv
	ds_store_b128 v44, v[68:71] offset:272
	ds_store_b128 v44, v[76:79] offset:544
	;; [unrolled: 1-line block ×9, first 2 shown]
	v_add_f64 v[0:1], v[28:29], v[0:1]
	v_fma_f64 v[28:29], v[227:228], s[14:15], v[229:230]
	v_add_f64 v[20:21], v[20:21], v[174:175]
	s_delay_alu instid0(VALU_DEP_3) | instskip(NEXT) | instid1(VALU_DEP_2)
	v_add_f64 v[0:1], v[2:3], v[0:1]
	v_add_f64 v[20:21], v[20:21], v[178:179]
	s_delay_alu instid0(VALU_DEP_1) | instskip(NEXT) | instid1(VALU_DEP_1)
	v_add_f64 v[20:21], v[20:21], v[108:109]
	v_add_f64 v[20:21], v[20:21], v[182:183]
	s_delay_alu instid0(VALU_DEP_1) | instskip(NEXT) | instid1(VALU_DEP_1)
	;; [unrolled: 3-line block ×6, first 2 shown]
	v_add_f64 v[20:21], v[20:21], v[116:117]
	v_add_f64 v[48:49], v[20:21], v[118:119]
	v_fma_f64 v[20:21], v[221:222], s[20:21], v[223:224]
	s_delay_alu instid0(VALU_DEP_1) | instskip(NEXT) | instid1(VALU_DEP_1)
	v_add_f64 v[20:21], v[20:21], v[40:41]
	v_add_f64 v[20:21], v[34:35], v[20:21]
	s_delay_alu instid0(VALU_DEP_1) | instskip(SKIP_2) | instid1(VALU_DEP_2)
	v_add_f64 v[2:3], v[28:29], v[20:21]
	v_fma_f64 v[20:21], v[241:242], s[26:27], -v[249:250]
	v_fma_f64 v[28:29], v[251:252], s[10:11], v[253:254]
	v_add_f64 v[0:1], v[20:21], v[0:1]
	s_delay_alu instid0(VALU_DEP_2) | instskip(NEXT) | instid1(VALU_DEP_2)
	v_add_f64 v[2:3], v[28:29], v[2:3]
	v_add_f64 v[0:1], v[8:9], v[0:1]
	s_delay_alu instid0(VALU_DEP_2) | instskip(SKIP_2) | instid1(VALU_DEP_2)
	v_add_f64 v[2:3], v[14:15], v[2:3]
	v_fma_f64 v[8:9], v[22:23], s[22:23], -v[24:25]
	v_fma_f64 v[14:15], v[26:27], s[2:3], v[30:31]
	v_add_f64 v[0:1], v[8:9], v[0:1]
	s_delay_alu instid0(VALU_DEP_2) | instskip(SKIP_2) | instid1(VALU_DEP_2)
	v_add_f64 v[2:3], v[14:15], v[2:3]
	v_fma_f64 v[8:9], v[32:33], s[18:19], -v[36:37]
	v_fma_f64 v[14:15], v[38:39], s[0:1], v[42:43]
	v_add_f64 v[96:97], v[8:9], v[0:1]
	s_delay_alu instid0(VALU_DEP_2)
	v_add_f64 v[98:99], v[14:15], v[2:3]
	ds_store_b128 v44, v[64:67] offset:2720
	ds_store_b128 v44, v[56:59] offset:2992
	;; [unrolled: 1-line block ×4, first 2 shown]
	ds_store_b128 v44, v[46:49]
	ds_store_b128 v44, v[80:83] offset:3808
	ds_store_b128 v44, v[72:75] offset:4080
	;; [unrolled: 1-line block ×3, first 2 shown]
	s_waitcnt lgkmcnt(0)
	s_barrier
	buffer_gl0_inv
	ds_load_b128 v[68:71], v255
	ds_load_b128 v[104:107], v255 offset:4624
	ds_load_b128 v[72:75], v255 offset:544
	;; [unrolled: 1-line block ×15, first 2 shown]
	v_add_nc_u32_e32 v1, 0xcc0, v255
	v_add_nc_u32_e32 v0, 0xee0, v255
	s_and_saveexec_b32 s0, vcc_lo
	s_cbranch_execz .LBB0_7
; %bb.6:
	ds_load_b128 v[96:99], v255 offset:4352
	ds_load_b128 v[2:5], v255 offset:8976
	s_waitcnt lgkmcnt(0)
	scratch_store_b128 off, v[2:5], off offset:4 ; 16-byte Folded Spill
.LBB0_7:
	s_or_b32 exec_lo, exec_lo, s0
	scratch_load_b128 v[34:37], off, off offset:380 ; 16-byte Folded Reload
	s_waitcnt lgkmcnt(12)
	v_mul_f64 v[6:7], v[142:143], v[110:111]
	v_mul_f64 v[8:9], v[142:143], v[108:109]
	s_waitcnt lgkmcnt(10)
	v_mul_f64 v[10:11], v[146:147], v[114:115]
	v_mul_f64 v[12:13], v[146:147], v[112:113]
	;; [unrolled: 3-line block ×7, first 2 shown]
	v_fma_f64 v[6:7], v[140:141], v[108:109], v[6:7]
	v_fma_f64 v[8:9], v[140:141], v[110:111], -v[8:9]
	v_fma_f64 v[10:11], v[144:145], v[112:113], v[10:11]
	v_fma_f64 v[12:13], v[144:145], v[114:115], -v[12:13]
	;; [unrolled: 2-line block ×7, first 2 shown]
	v_add_f64 v[6:7], v[72:73], -v[6:7]
	v_add_f64 v[8:9], v[74:75], -v[8:9]
	;; [unrolled: 1-line block ×14, first 2 shown]
	v_fma_f64 v[38:39], v[72:73], 2.0, -v[6:7]
	v_fma_f64 v[40:41], v[74:75], 2.0, -v[8:9]
	;; [unrolled: 1-line block ×13, first 2 shown]
	s_waitcnt vmcnt(0)
	v_mul_f64 v[2:3], v[36:37], v[106:107]
	v_mul_f64 v[4:5], v[36:37], v[104:105]
	s_delay_alu instid0(VALU_DEP_2) | instskip(NEXT) | instid1(VALU_DEP_2)
	v_fma_f64 v[2:3], v[34:35], v[104:105], v[2:3]
	v_fma_f64 v[4:5], v[34:35], v[106:107], -v[4:5]
	s_delay_alu instid0(VALU_DEP_2) | instskip(NEXT) | instid1(VALU_DEP_2)
	v_add_f64 v[2:3], v[68:69], -v[2:3]
	v_add_f64 v[4:5], v[70:71], -v[4:5]
	s_delay_alu instid0(VALU_DEP_2) | instskip(NEXT) | instid1(VALU_DEP_2)
	v_fma_f64 v[34:35], v[68:69], 2.0, -v[2:3]
	v_fma_f64 v[36:37], v[70:71], 2.0, -v[4:5]
	;; [unrolled: 1-line block ×3, first 2 shown]
	ds_store_b128 v255, v[34:37]
	ds_store_b128 v45, v[2:5] offset:4624
	ds_store_b128 v255, v[38:41] offset:544
	;; [unrolled: 1-line block ×15, first 2 shown]
	s_and_saveexec_b32 s0, vcc_lo
	s_cbranch_execz .LBB0_9
; %bb.8:
	s_clause 0x1
	scratch_load_b128 v[4:7], off, off offset:428
	scratch_load_b128 v[8:11], off, off offset:4
	s_waitcnt vmcnt(0)
	v_mul_f64 v[0:1], v[6:7], v[8:9]
	v_mul_f64 v[2:3], v[6:7], v[10:11]
	s_delay_alu instid0(VALU_DEP_2) | instskip(NEXT) | instid1(VALU_DEP_2)
	v_fma_f64 v[0:1], v[4:5], v[10:11], -v[0:1]
	v_fma_f64 v[4:5], v[4:5], v[8:9], v[2:3]
	s_delay_alu instid0(VALU_DEP_2) | instskip(NEXT) | instid1(VALU_DEP_2)
	v_add_f64 v[2:3], v[98:99], -v[0:1]
	v_add_f64 v[0:1], v[96:97], -v[4:5]
	s_delay_alu instid0(VALU_DEP_2) | instskip(NEXT) | instid1(VALU_DEP_2)
	v_fma_f64 v[6:7], v[98:99], 2.0, -v[2:3]
	v_fma_f64 v[4:5], v[96:97], 2.0, -v[0:1]
	ds_store_b128 v255, v[4:7] offset:4352
	ds_store_b128 v45, v[0:3] offset:8976
.LBB0_9:
	s_or_b32 exec_lo, exec_lo, s0
	s_waitcnt lgkmcnt(0)
	s_waitcnt_vscnt null, 0x0
	s_barrier
	buffer_gl0_inv
	ds_load_b128 v[0:3], v255
	ds_load_b128 v[4:7], v255 offset:544
	ds_load_b128 v[8:11], v255 offset:1088
	;; [unrolled: 1-line block ×5, first 2 shown]
	s_clause 0x2
	scratch_load_b128 v[102:105], off, off offset:28
	scratch_load_b64 v[24:25], off, off offset:20
	scratch_load_b32 v99, off, off
	s_mov_b32 s0, 0xd10d4986
	s_mov_b32 s1, 0x3f5c5894
	s_mul_i32 s3, s5, 0x220
	s_mul_i32 s2, s4, 0x220
	s_waitcnt vmcnt(2) lgkmcnt(5)
	v_mul_f64 v[70:71], v[104:105], v[2:3]
	v_mul_f64 v[72:73], v[104:105], v[0:1]
	scratch_load_b128 v[104:107], off, off offset:44 ; 16-byte Folded Reload
	s_waitcnt vmcnt(2)
	v_mov_b32_e32 v98, v24
	ds_load_b128 v[24:27], v255 offset:3264
	s_waitcnt vmcnt(1)
	v_mad_u64_u32 v[78:79], null, s4, v99, 0
	v_mad_u64_u32 v[68:69], null, s6, v98, 0
	s_mul_hi_u32 s6, s4, 0x220
	s_delay_alu instid0(SALU_CYCLE_1) | instskip(NEXT) | instid1(VALU_DEP_1)
	s_add_i32 s6, s6, s3
	v_mad_u64_u32 v[96:97], null, s7, v98, v[69:70]
	v_fma_f64 v[0:1], v[102:103], v[0:1], v[70:71]
	v_fma_f64 v[2:3], v[102:103], v[2:3], -v[72:73]
	s_delay_alu instid0(VALU_DEP_3) | instskip(NEXT) | instid1(VALU_DEP_1)
	v_mov_b32_e32 v69, v96
	v_lshlrev_b64 v[68:69], 4, v[68:69]
	s_delay_alu instid0(VALU_DEP_1) | instskip(NEXT) | instid1(VALU_DEP_2)
	v_add_co_u32 v68, vcc_lo, s12, v68
	v_add_co_ci_u32_e32 v69, vcc_lo, s13, v69, vcc_lo
	v_mul_f64 v[0:1], v[0:1], s[0:1]
	v_mul_f64 v[2:3], v[2:3], s[0:1]
	s_waitcnt vmcnt(0) lgkmcnt(5)
	v_mul_f64 v[74:75], v[106:107], v[6:7]
	v_mul_f64 v[76:77], v[106:107], v[4:5]
	scratch_load_b128 v[106:109], off, off offset:60 ; 16-byte Folded Reload
	v_fma_f64 v[4:5], v[104:105], v[4:5], v[74:75]
	v_fma_f64 v[6:7], v[104:105], v[6:7], -v[76:77]
	s_delay_alu instid0(VALU_DEP_2) | instskip(NEXT) | instid1(VALU_DEP_2)
	v_mul_f64 v[4:5], v[4:5], s[0:1]
	v_mul_f64 v[6:7], v[6:7], s[0:1]
	s_waitcnt vmcnt(0) lgkmcnt(4)
	v_mul_f64 v[80:81], v[108:109], v[10:11]
	v_mul_f64 v[82:83], v[108:109], v[8:9]
	scratch_load_b128 v[108:111], off, off offset:76 ; 16-byte Folded Reload
	v_mad_u64_u32 v[97:98], null, s5, v99, v[79:80]
	v_fma_f64 v[8:9], v[106:107], v[8:9], v[80:81]
	v_fma_f64 v[10:11], v[106:107], v[10:11], -v[82:83]
	s_delay_alu instid0(VALU_DEP_3) | instskip(NEXT) | instid1(VALU_DEP_1)
	v_mov_b32_e32 v79, v97
	v_lshlrev_b64 v[78:79], 4, v[78:79]
	s_delay_alu instid0(VALU_DEP_1) | instskip(NEXT) | instid1(VALU_DEP_2)
	v_add_co_u32 v68, vcc_lo, v68, v78
	v_add_co_ci_u32_e32 v69, vcc_lo, v69, v79, vcc_lo
	v_mul_f64 v[8:9], v[8:9], s[0:1]
	v_mul_f64 v[10:11], v[10:11], s[0:1]
	s_waitcnt vmcnt(0) lgkmcnt(3)
	v_mul_f64 v[84:85], v[110:111], v[14:15]
	v_mul_f64 v[86:87], v[110:111], v[12:13]
	scratch_load_b128 v[110:113], off, off offset:92 ; 16-byte Folded Reload
	v_fma_f64 v[12:13], v[108:109], v[12:13], v[84:85]
	v_fma_f64 v[14:15], v[108:109], v[14:15], -v[86:87]
	s_delay_alu instid0(VALU_DEP_2) | instskip(NEXT) | instid1(VALU_DEP_2)
	v_mul_f64 v[12:13], v[12:13], s[0:1]
	v_mul_f64 v[14:15], v[14:15], s[0:1]
	s_waitcnt vmcnt(0) lgkmcnt(2)
	v_mul_f64 v[88:89], v[112:113], v[18:19]
	v_mul_f64 v[90:91], v[112:113], v[16:17]
	scratch_load_b128 v[112:115], off, off offset:124 ; 16-byte Folded Reload
	ds_load_b128 v[28:31], v255 offset:3808
	ds_load_b128 v[32:35], v255 offset:4352
	;; [unrolled: 1-line block ×10, first 2 shown]
	scratch_load_b128 v[118:121], off, off offset:108 ; 16-byte Folded Reload
	v_fma_f64 v[16:17], v[110:111], v[16:17], v[88:89]
	v_fma_f64 v[18:19], v[110:111], v[18:19], -v[90:91]
	s_delay_alu instid0(VALU_DEP_2) | instskip(NEXT) | instid1(VALU_DEP_2)
	v_mul_f64 v[16:17], v[16:17], s[0:1]
	v_mul_f64 v[18:19], v[18:19], s[0:1]
	s_waitcnt vmcnt(1) lgkmcnt(11)
	v_mul_f64 v[92:93], v[114:115], v[22:23]
	v_mul_f64 v[94:95], v[114:115], v[20:21]
	s_waitcnt vmcnt(0) lgkmcnt(10)
	v_mul_f64 v[98:99], v[120:121], v[26:27]
	v_mul_f64 v[100:101], v[120:121], v[24:25]
	scratch_load_b128 v[120:123], off, off offset:140 ; 16-byte Folded Reload
	v_fma_f64 v[20:21], v[112:113], v[20:21], v[92:93]
	v_fma_f64 v[22:23], v[112:113], v[22:23], -v[94:95]
	v_fma_f64 v[24:25], v[118:119], v[24:25], v[98:99]
	v_fma_f64 v[26:27], v[118:119], v[26:27], -v[100:101]
	v_add_co_u32 v112, vcc_lo, v68, s2
	v_add_co_ci_u32_e32 v113, vcc_lo, s6, v69, vcc_lo
	s_delay_alu instid0(VALU_DEP_2) | instskip(NEXT) | instid1(VALU_DEP_2)
	v_add_co_u32 v116, vcc_lo, v112, s2
	v_add_co_ci_u32_e32 v117, vcc_lo, s6, v113, vcc_lo
	s_delay_alu instid0(VALU_DEP_2) | instskip(NEXT) | instid1(VALU_DEP_2)
	v_add_co_u32 v98, vcc_lo, v116, s2
	v_add_co_ci_u32_e32 v99, vcc_lo, s6, v117, vcc_lo
	v_mul_f64 v[20:21], v[20:21], s[0:1]
	v_mul_f64 v[22:23], v[22:23], s[0:1]
	s_waitcnt vmcnt(0) lgkmcnt(9)
	v_mul_f64 v[70:71], v[122:123], v[30:31]
	v_mul_f64 v[72:73], v[122:123], v[28:29]
	scratch_load_b128 v[122:125], off, off offset:156 ; 16-byte Folded Reload
	v_fma_f64 v[28:29], v[120:121], v[28:29], v[70:71]
	v_fma_f64 v[30:31], v[120:121], v[30:31], -v[72:73]
	v_add_co_u32 v70, vcc_lo, v98, s2
	v_add_co_ci_u32_e32 v71, vcc_lo, s6, v99, vcc_lo
	s_waitcnt vmcnt(0) lgkmcnt(8)
	v_mul_f64 v[74:75], v[124:125], v[34:35]
	v_mul_f64 v[76:77], v[124:125], v[32:33]
	scratch_load_b128 v[124:127], off, off offset:172 ; 16-byte Folded Reload
	v_fma_f64 v[32:33], v[122:123], v[32:33], v[74:75]
	v_fma_f64 v[34:35], v[122:123], v[34:35], -v[76:77]
	s_waitcnt vmcnt(0) lgkmcnt(7)
	v_mul_f64 v[80:81], v[126:127], v[38:39]
	v_mul_f64 v[82:83], v[126:127], v[36:37]
	scratch_load_b128 v[126:129], off, off offset:188 ; 16-byte Folded Reload
	v_fma_f64 v[36:37], v[124:125], v[36:37], v[80:81]
	v_fma_f64 v[38:39], v[124:125], v[38:39], -v[82:83]
	;; [unrolled: 6-line block ×3, first 2 shown]
	s_waitcnt vmcnt(0) lgkmcnt(5)
	v_mul_f64 v[88:89], v[130:131], v[46:47]
	v_mul_f64 v[90:91], v[130:131], v[44:45]
	scratch_load_b128 v[130:133], off, off offset:220 ; 16-byte Folded Reload
	s_waitcnt vmcnt(0) lgkmcnt(4)
	v_mul_f64 v[92:93], v[132:133], v[50:51]
	v_mul_f64 v[94:95], v[132:133], v[48:49]
	scratch_load_b128 v[132:135], off, off offset:236 ; 16-byte Folded Reload
	;; [unrolled: 4-line block ×5, first 2 shown]
	s_clause 0x1
	global_store_b128 v[68:69], v[0:3], off
	global_store_b128 v[112:113], v[4:7], off
	v_add_co_u32 v4, vcc_lo, v70, s2
	v_add_co_ci_u32_e32 v5, vcc_lo, s6, v71, vcc_lo
	s_clause 0x2
	global_store_b128 v[116:117], v[8:11], off
	global_store_b128 v[98:99], v[12:15], off
	global_store_b128 v[70:71], v[16:19], off
	global_store_b128 v[4:5], v[20:23], off
	v_fma_f64 v[20:21], v[128:129], v[44:45], v[88:89]
	v_fma_f64 v[22:23], v[128:129], v[46:47], -v[90:91]
	v_fma_f64 v[44:45], v[130:131], v[48:49], v[92:93]
	v_fma_f64 v[46:47], v[130:131], v[50:51], -v[94:95]
	v_fma_f64 v[48:49], v[132:133], v[52:53], v[102:103]
	v_fma_f64 v[50:51], v[132:133], v[54:55], -v[104:105]
	v_fma_f64 v[52:53], v[134:135], v[56:57], v[106:107]
	v_fma_f64 v[54:55], v[134:135], v[58:59], -v[96:97]
	v_mul_f64 v[0:1], v[24:25], s[0:1]
	v_mul_f64 v[2:3], v[26:27], s[0:1]
	;; [unrolled: 1-line block ×9, first 2 shown]
	v_fma_f64 v[56:57], v[136:137], v[60:61], v[108:109]
	v_fma_f64 v[58:59], v[136:137], v[62:63], -v[110:111]
	v_mul_f64 v[20:21], v[20:21], s[0:1]
	v_mul_f64 v[22:23], v[22:23], s[0:1]
	;; [unrolled: 1-line block ×9, first 2 shown]
	s_waitcnt vmcnt(0) lgkmcnt(0)
	v_mul_f64 v[78:79], v[140:141], v[66:67]
	v_mul_f64 v[114:115], v[140:141], v[64:65]
	s_delay_alu instid0(VALU_DEP_2) | instskip(NEXT) | instid1(VALU_DEP_2)
	v_fma_f64 v[60:61], v[138:139], v[64:65], v[78:79]
	v_fma_f64 v[62:63], v[138:139], v[66:67], -v[114:115]
	v_add_co_u32 v64, vcc_lo, v4, s2
	v_add_co_ci_u32_e32 v65, vcc_lo, s6, v5, vcc_lo
	v_mul_f64 v[4:5], v[28:29], s[0:1]
	s_delay_alu instid0(VALU_DEP_3) | instskip(NEXT) | instid1(VALU_DEP_3)
	v_add_co_u32 v66, vcc_lo, v64, s2
	v_add_co_ci_u32_e32 v67, vcc_lo, s6, v65, vcc_lo
	v_mul_f64 v[28:29], v[48:49], s[0:1]
	s_delay_alu instid0(VALU_DEP_3) | instskip(NEXT) | instid1(VALU_DEP_3)
	v_add_co_u32 v68, vcc_lo, v66, s2
	v_add_co_ci_u32_e32 v69, vcc_lo, s6, v67, vcc_lo
	global_store_b128 v[64:65], v[0:3], off
	v_add_co_u32 v70, vcc_lo, v68, s2
	v_add_co_ci_u32_e32 v71, vcc_lo, s6, v69, vcc_lo
	s_delay_alu instid0(VALU_DEP_2) | instskip(NEXT) | instid1(VALU_DEP_2)
	v_add_co_u32 v44, vcc_lo, v70, s2
	v_add_co_ci_u32_e32 v45, vcc_lo, s6, v71, vcc_lo
	s_delay_alu instid0(VALU_DEP_2) | instskip(NEXT) | instid1(VALU_DEP_2)
	;; [unrolled: 3-line block ×3, first 2 shown]
	v_add_co_u32 v2, vcc_lo, v0, s2
	v_add_co_ci_u32_e32 v3, vcc_lo, s6, v1, vcc_lo
	v_mul_f64 v[40:41], v[60:61], s[0:1]
	v_mul_f64 v[42:43], v[62:63], s[0:1]
	global_store_b128 v[66:67], v[4:7], off
	v_add_co_u32 v4, vcc_lo, v2, s2
	v_add_co_ci_u32_e32 v5, vcc_lo, s6, v3, vcc_lo
	global_store_b128 v[68:69], v[8:11], off
	v_add_co_u32 v6, vcc_lo, v4, s2
	v_add_co_ci_u32_e32 v7, vcc_lo, s6, v5, vcc_lo
	;; [unrolled: 3-line block ×3, first 2 shown]
	global_store_b128 v[44:45], v[16:19], off
	global_store_b128 v[0:1], v[20:23], off
	v_add_co_u32 v0, vcc_lo, v8, s2
	v_add_co_ci_u32_e32 v1, vcc_lo, s6, v9, vcc_lo
	global_store_b128 v[2:3], v[24:27], off
	global_store_b128 v[4:5], v[28:31], off
	;; [unrolled: 1-line block ×5, first 2 shown]
.LBB0_10:
	s_nop 0
	s_sendmsg sendmsg(MSG_DEALLOC_VGPRS)
	s_endpgm
	.section	.rodata,"a",@progbits
	.p2align	6, 0x0
	.amdhsa_kernel bluestein_single_back_len578_dim1_dp_op_CI_CI
		.amdhsa_group_segment_fixed_size 64736
		.amdhsa_private_segment_fixed_size 448
		.amdhsa_kernarg_size 104
		.amdhsa_user_sgpr_count 15
		.amdhsa_user_sgpr_dispatch_ptr 0
		.amdhsa_user_sgpr_queue_ptr 0
		.amdhsa_user_sgpr_kernarg_segment_ptr 1
		.amdhsa_user_sgpr_dispatch_id 0
		.amdhsa_user_sgpr_private_segment_size 0
		.amdhsa_wavefront_size32 1
		.amdhsa_uses_dynamic_stack 0
		.amdhsa_enable_private_segment 1
		.amdhsa_system_sgpr_workgroup_id_x 1
		.amdhsa_system_sgpr_workgroup_id_y 0
		.amdhsa_system_sgpr_workgroup_id_z 0
		.amdhsa_system_sgpr_workgroup_info 0
		.amdhsa_system_vgpr_workitem_id 0
		.amdhsa_next_free_vgpr 256
		.amdhsa_next_free_sgpr 62
		.amdhsa_reserve_vcc 1
		.amdhsa_float_round_mode_32 0
		.amdhsa_float_round_mode_16_64 0
		.amdhsa_float_denorm_mode_32 3
		.amdhsa_float_denorm_mode_16_64 3
		.amdhsa_dx10_clamp 1
		.amdhsa_ieee_mode 1
		.amdhsa_fp16_overflow 0
		.amdhsa_workgroup_processor_mode 1
		.amdhsa_memory_ordered 1
		.amdhsa_forward_progress 0
		.amdhsa_shared_vgpr_count 0
		.amdhsa_exception_fp_ieee_invalid_op 0
		.amdhsa_exception_fp_denorm_src 0
		.amdhsa_exception_fp_ieee_div_zero 0
		.amdhsa_exception_fp_ieee_overflow 0
		.amdhsa_exception_fp_ieee_underflow 0
		.amdhsa_exception_fp_ieee_inexact 0
		.amdhsa_exception_int_div_zero 0
	.end_amdhsa_kernel
	.text
.Lfunc_end0:
	.size	bluestein_single_back_len578_dim1_dp_op_CI_CI, .Lfunc_end0-bluestein_single_back_len578_dim1_dp_op_CI_CI
                                        ; -- End function
	.section	.AMDGPU.csdata,"",@progbits
; Kernel info:
; codeLenInByte = 35652
; NumSgprs: 64
; NumVgprs: 256
; ScratchSize: 448
; MemoryBound: 0
; FloatMode: 240
; IeeeMode: 1
; LDSByteSize: 64736 bytes/workgroup (compile time only)
; SGPRBlocks: 7
; VGPRBlocks: 31
; NumSGPRsForWavesPerEU: 64
; NumVGPRsForWavesPerEU: 256
; Occupancy: 4
; WaveLimiterHint : 1
; COMPUTE_PGM_RSRC2:SCRATCH_EN: 1
; COMPUTE_PGM_RSRC2:USER_SGPR: 15
; COMPUTE_PGM_RSRC2:TRAP_HANDLER: 0
; COMPUTE_PGM_RSRC2:TGID_X_EN: 1
; COMPUTE_PGM_RSRC2:TGID_Y_EN: 0
; COMPUTE_PGM_RSRC2:TGID_Z_EN: 0
; COMPUTE_PGM_RSRC2:TIDIG_COMP_CNT: 0
	.text
	.p2alignl 7, 3214868480
	.fill 96, 4, 3214868480
	.type	__hip_cuid_1c355e661b5c3410,@object ; @__hip_cuid_1c355e661b5c3410
	.section	.bss,"aw",@nobits
	.globl	__hip_cuid_1c355e661b5c3410
__hip_cuid_1c355e661b5c3410:
	.byte	0                               ; 0x0
	.size	__hip_cuid_1c355e661b5c3410, 1

	.ident	"AMD clang version 19.0.0git (https://github.com/RadeonOpenCompute/llvm-project roc-6.4.0 25133 c7fe45cf4b819c5991fe208aaa96edf142730f1d)"
	.section	".note.GNU-stack","",@progbits
	.addrsig
	.addrsig_sym __hip_cuid_1c355e661b5c3410
	.amdgpu_metadata
---
amdhsa.kernels:
  - .args:
      - .actual_access:  read_only
        .address_space:  global
        .offset:         0
        .size:           8
        .value_kind:     global_buffer
      - .actual_access:  read_only
        .address_space:  global
        .offset:         8
        .size:           8
        .value_kind:     global_buffer
      - .actual_access:  read_only
        .address_space:  global
        .offset:         16
        .size:           8
        .value_kind:     global_buffer
      - .actual_access:  read_only
        .address_space:  global
        .offset:         24
        .size:           8
        .value_kind:     global_buffer
      - .actual_access:  read_only
        .address_space:  global
        .offset:         32
        .size:           8
        .value_kind:     global_buffer
      - .offset:         40
        .size:           8
        .value_kind:     by_value
      - .address_space:  global
        .offset:         48
        .size:           8
        .value_kind:     global_buffer
      - .address_space:  global
        .offset:         56
        .size:           8
        .value_kind:     global_buffer
      - .address_space:  global
        .offset:         64
        .size:           8
        .value_kind:     global_buffer
      - .address_space:  global
        .offset:         72
        .size:           8
        .value_kind:     global_buffer
      - .offset:         80
        .size:           4
        .value_kind:     by_value
      - .address_space:  global
        .offset:         88
        .size:           8
        .value_kind:     global_buffer
      - .address_space:  global
        .offset:         96
        .size:           8
        .value_kind:     global_buffer
    .group_segment_fixed_size: 64736
    .kernarg_segment_align: 8
    .kernarg_segment_size: 104
    .language:       OpenCL C
    .language_version:
      - 2
      - 0
    .max_flat_workgroup_size: 238
    .name:           bluestein_single_back_len578_dim1_dp_op_CI_CI
    .private_segment_fixed_size: 448
    .sgpr_count:     64
    .sgpr_spill_count: 0
    .symbol:         bluestein_single_back_len578_dim1_dp_op_CI_CI.kd
    .uniform_work_group_size: 1
    .uses_dynamic_stack: false
    .vgpr_count:     256
    .vgpr_spill_count: 127
    .wavefront_size: 32
    .workgroup_processor_mode: 1
amdhsa.target:   amdgcn-amd-amdhsa--gfx1100
amdhsa.version:
  - 1
  - 2
...

	.end_amdgpu_metadata
